;; amdgpu-corpus repo=ROCm/rocFFT kind=compiled arch=gfx1100 opt=O3
	.text
	.amdgcn_target "amdgcn-amd-amdhsa--gfx1100"
	.amdhsa_code_object_version 6
	.protected	bluestein_single_back_len1296_dim1_sp_op_CI_CI ; -- Begin function bluestein_single_back_len1296_dim1_sp_op_CI_CI
	.globl	bluestein_single_back_len1296_dim1_sp_op_CI_CI
	.p2align	8
	.type	bluestein_single_back_len1296_dim1_sp_op_CI_CI,@function
bluestein_single_back_len1296_dim1_sp_op_CI_CI: ; @bluestein_single_back_len1296_dim1_sp_op_CI_CI
; %bb.0:
	s_load_b128 s[16:19], s[0:1], 0x28
	v_mul_u32_u24_e32 v1, 0x25f, v0
	s_mov_b32 s2, exec_lo
	v_mov_b32_e32 v73, 0
	s_delay_alu instid0(VALU_DEP_2) | instskip(NEXT) | instid1(VALU_DEP_1)
	v_lshrrev_b32_e32 v1, 16, v1
	v_add_nc_u32_e32 v72, s15, v1
	s_waitcnt lgkmcnt(0)
	s_delay_alu instid0(VALU_DEP_1)
	v_cmpx_gt_u64_e64 s[16:17], v[72:73]
	s_cbranch_execz .LBB0_2
; %bb.1:
	s_clause 0x1
	s_load_b128 s[4:7], s[0:1], 0x18
	s_load_b128 s[8:11], s[0:1], 0x0
	v_mul_lo_u16 v1, 0x6c, v1
	s_load_b64 s[0:1], s[0:1], 0x38
	s_delay_alu instid0(VALU_DEP_1) | instskip(NEXT) | instid1(VALU_DEP_1)
	v_sub_nc_u16 v16, v0, v1
	v_and_b32_e32 v88, 0xffff, v16
	s_waitcnt lgkmcnt(0)
	s_load_b128 s[12:15], s[4:5], 0x0
	s_waitcnt lgkmcnt(0)
	v_mad_u64_u32 v[0:1], null, s14, v72, 0
	v_mad_u64_u32 v[2:3], null, s12, v88, 0
	s_mul_i32 s2, s13, 0x6c0
	s_mul_hi_u32 s3, s12, 0x6c0
	s_mul_i32 s4, s12, 0x6c0
	s_add_i32 s3, s3, s2
	s_delay_alu instid0(VALU_DEP_1) | instskip(NEXT) | instid1(VALU_DEP_1)
	v_mad_u64_u32 v[4:5], null, s15, v72, v[1:2]
	v_mov_b32_e32 v1, v4
	s_delay_alu instid0(VALU_DEP_3)
	v_mad_u64_u32 v[5:6], null, s13, v88, v[3:4]
	v_lshlrev_b32_e32 v87, 3, v88
	s_clause 0x1
	global_load_b64 v[52:53], v87, s[8:9]
	global_load_b64 v[50:51], v87, s[8:9] offset:3456
	v_mov_b32_e32 v3, v5
	v_lshlrev_b64 v[0:1], 3, v[0:1]
	s_clause 0x1
	global_load_b64 v[54:55], v87, s[8:9] offset:1728
	global_load_b64 v[48:49], v87, s[8:9] offset:2592
	v_add_co_u32 v30, null, 0x6c, v88
	v_lshlrev_b64 v[2:3], 3, v[2:3]
	v_add_co_u32 v0, vcc_lo, s18, v0
	v_add_co_ci_u32_e32 v1, vcc_lo, s19, v1, vcc_lo
	s_delay_alu instid0(VALU_DEP_2) | instskip(NEXT) | instid1(VALU_DEP_2)
	v_add_co_u32 v0, vcc_lo, v0, v2
	v_add_co_ci_u32_e32 v1, vcc_lo, v1, v3, vcc_lo
	s_delay_alu instid0(VALU_DEP_2) | instskip(NEXT) | instid1(VALU_DEP_2)
	v_add_co_u32 v2, vcc_lo, v0, s4
	v_add_co_ci_u32_e32 v3, vcc_lo, s3, v1, vcc_lo
	global_load_b64 v[0:1], v[0:1], off
	v_add_co_u32 v4, vcc_lo, v2, s4
	v_add_co_ci_u32_e32 v5, vcc_lo, s3, v3, vcc_lo
	global_load_b64 v[2:3], v[2:3], off
	s_waitcnt vmcnt(1)
	v_mul_f32_e32 v28, v0, v53
	v_add_co_u32 v98, s2, s8, v87
	s_delay_alu instid0(VALU_DEP_1) | instskip(SKIP_1) | instid1(VALU_DEP_2)
	v_add_co_ci_u32_e64 v99, null, s9, 0, s2
	s_mul_i32 s2, s13, 0xffffe1a0
	v_add_co_u32 v6, vcc_lo, 0x1000, v98
	s_delay_alu instid0(VALU_DEP_2)
	v_add_co_ci_u32_e32 v7, vcc_lo, 0, v99, vcc_lo
	v_add_co_u32 v8, vcc_lo, v4, s4
	v_add_co_ci_u32_e32 v9, vcc_lo, s3, v5, vcc_lo
	global_load_b64 v[56:57], v[6:7], off offset:1088
	global_load_b64 v[4:5], v[4:5], off
	global_load_b64 v[58:59], v[6:7], off offset:2816
	v_add_co_u32 v10, vcc_lo, v8, s4
	v_add_co_ci_u32_e32 v11, vcc_lo, s3, v9, vcc_lo
	global_load_b64 v[8:9], v[8:9], off
	v_add_co_u32 v12, vcc_lo, v10, s4
	v_add_co_ci_u32_e32 v13, vcc_lo, s3, v11, vcc_lo
	global_load_b64 v[10:11], v[10:11], off
	v_add_co_u32 v85, vcc_lo, 0x2000, v98
	v_mad_u64_u32 v[14:15], null, 0xffffe1a0, s12, v[12:13]
	s_sub_i32 s2, s2, s12
	s_waitcnt vmcnt(5)
	v_mul_f32_e32 v27, v3, v55
	v_add_co_ci_u32_e32 v86, vcc_lo, 0, v99, vcc_lo
	v_mul_f32_e32 v35, v2, v55
	v_and_b32_e32 v29, 0xff, v16
	v_add_nc_u32_e32 v15, s2, v15
	v_dual_fmac_f32 v27, v2, v54 :: v_dual_add_nc_u32 v92, 0xc00, v87
	v_and_b32_e32 v33, 0xff, v30
	v_add_nc_u32_e32 v90, 0x400, v87
	s_waitcnt vmcnt(1)
	v_dual_mul_f32 v2, v9, v57 :: v_dual_add_nc_u32 v93, 0x2000, v87
	s_clause 0x2
	global_load_b64 v[62:63], v87, s[8:9] offset:864
	global_load_b64 v[64:65], v[85:86], off offset:448
	global_load_b64 v[60:61], v[6:7], off offset:1952
	global_load_b64 v[12:13], v[12:13], off
	global_load_b64 v[17:18], v[14:15], off
	v_add_co_u32 v14, vcc_lo, v14, s4
	v_add_co_ci_u32_e32 v15, vcc_lo, s3, v15, vcc_lo
	global_load_b64 v[66:67], v[6:7], off offset:224
	v_add_co_u32 v19, vcc_lo, v14, s4
	v_add_co_ci_u32_e32 v20, vcc_lo, s3, v15, vcc_lo
	global_load_b64 v[14:15], v[14:15], off
	v_add_co_u32 v21, vcc_lo, v19, s4
	v_add_co_ci_u32_e32 v22, vcc_lo, s3, v20, vcc_lo
	global_load_b64 v[19:20], v[19:20], off
	;; [unrolled: 3-line block ×3, first 2 shown]
	v_add_co_u32 v25, vcc_lo, v23, s4
	v_add_co_ci_u32_e32 v26, vcc_lo, s3, v24, vcc_lo
	global_load_b64 v[68:69], v[6:7], off offset:3680
	global_load_b64 v[6:7], v[23:24], off
	global_load_b64 v[70:71], v[85:86], off offset:1312
	global_load_b64 v[23:24], v[25:26], off
	v_mul_lo_u16 v25, v16, 6
	v_dual_fmac_f32 v2, v8, v56 :: v_dual_add_nc_u32 v91, 0x1000, v87
	s_load_b128 s[4:7], s[6:7], 0x0
	s_delay_alu instid0(VALU_DEP_2) | instskip(SKIP_1) | instid1(VALU_DEP_1)
	v_and_b32_e32 v31, 0xffff, v25
	v_mul_f32_e32 v25, v1, v53
	v_dual_fmac_f32 v25, v0, v52 :: v_dual_mul_f32 v0, v5, v51
	v_mul_lo_u16 v26, 0xab, v29
	s_delay_alu instid0(VALU_DEP_2) | instskip(NEXT) | instid1(VALU_DEP_2)
	v_fmac_f32_e32 v0, v4, v50
	v_lshrrev_b16 v34, 10, v26
	v_mul_lo_u16 v26, 0xab, v33
	s_delay_alu instid0(VALU_DEP_2) | instskip(NEXT) | instid1(VALU_DEP_2)
	v_mul_lo_u16 v32, v34, 6
	v_lshrrev_b16 v36, 10, v26
	v_fma_f32 v26, v1, v52, -v28
	v_mul_f32_e32 v1, v4, v51
	v_fma_f32 v28, v3, v54, -v35
	s_waitcnt vmcnt(13)
	v_dual_mul_f32 v3, v8, v57 :: v_dual_mul_f32 v4, v11, v59
	v_add_nc_u32_e32 v89, 0x1800, v87
	v_fma_f32 v1, v5, v50, -v1
	v_mul_f32_e32 v5, v10, v59
	s_delay_alu instid0(VALU_DEP_4)
	v_fma_f32 v3, v9, v56, -v3
	v_fmac_f32_e32 v4, v10, v58
	s_waitcnt lgkmcnt(0)
	s_mul_i32 s3, s5, 0x6c0
	s_mul_i32 s2, s4, 0x6c0
	v_fma_f32 v5, v11, v58, -v5
	s_waitcnt vmcnt(9)
	v_mul_f32_e32 v8, v13, v65
	s_waitcnt vmcnt(8)
	v_dual_mul_f32 v9, v12, v65 :: v_dual_mul_f32 v10, v18, v63
	s_delay_alu instid0(VALU_DEP_2) | instskip(NEXT) | instid1(VALU_DEP_2)
	v_dual_mul_f32 v35, v17, v63 :: v_dual_fmac_f32 v8, v12, v64
	v_fma_f32 v9, v13, v64, -v9
	s_delay_alu instid0(VALU_DEP_3)
	v_fmac_f32_e32 v10, v17, v62
	ds_store_b64 v87, v[27:28] offset:1728
	ds_store_b64 v87, v[0:1] offset:3456
	ds_store_b64 v87, v[2:3] offset:5184
	ds_store_b64 v87, v[4:5] offset:6912
	ds_store_b64 v87, v[8:9] offset:8640
	v_mul_u32_u24_e32 v27, 6, v30
	s_waitcnt vmcnt(6)
	v_mul_f32_e32 v0, v15, v49
	s_waitcnt vmcnt(5)
	v_dual_mul_f32 v1, v14, v49 :: v_dual_mul_f32 v2, v20, v67
	s_delay_alu instid0(VALU_DEP_2) | instskip(NEXT) | instid1(VALU_DEP_2)
	v_fmac_f32_e32 v0, v14, v48
	v_fma_f32 v1, v15, v48, -v1
	s_waitcnt vmcnt(4)
	v_mul_f32_e32 v4, v22, v61
	v_fma_f32 v11, v18, v62, -v35
	v_mul_f32_e32 v5, v21, v61
	s_waitcnt vmcnt(2)
	v_mul_f32_e32 v8, v7, v69
	v_mul_f32_e32 v3, v19, v67
	v_fmac_f32_e32 v2, v19, v66
	ds_store_2addr_b64 v87, v[25:26], v[10:11] offset1:108
	s_waitcnt vmcnt(0)
	v_mul_f32_e32 v10, v24, v71
	v_fmac_f32_e32 v8, v6, v68
	v_mul_f32_e32 v9, v6, v69
	v_sub_nc_u16 v25, v16, v32
	v_mul_f32_e32 v11, v23, v71
	v_fma_f32 v3, v20, v66, -v3
	v_fmac_f32_e32 v4, v21, v60
	v_fma_f32 v5, v22, v60, -v5
	v_and_b32_e32 v40, 0xff, v25
	v_fmac_f32_e32 v10, v23, v70
	v_fma_f32 v9, v7, v68, -v9
	v_fma_f32 v11, v24, v70, -v11
	ds_store_b64 v87, v[0:1] offset:2592
	ds_store_b64 v87, v[2:3] offset:4320
	;; [unrolled: 1-line block ×5, first 2 shown]
	s_waitcnt lgkmcnt(0)
	s_barrier
	buffer_gl0_inv
	ds_load_2addr_b64 v[0:3], v87 offset1:108
	ds_load_2addr_b64 v[4:7], v92 offset0:48 offset1:156
	ds_load_2addr_b64 v[8:11], v89 offset0:96 offset1:204
	;; [unrolled: 1-line block ×5, first 2 shown]
	v_mul_lo_u16 v26, v36, 6
	v_lshlrev_b32_e32 v96, 3, v27
	v_lshlrev_b32_e32 v97, 3, v31
	s_waitcnt lgkmcnt(0)
	s_barrier
	v_sub_nc_u16 v28, v30, v26
	v_mad_u64_u32 v[25:26], null, v40, 40, s[10:11]
	buffer_gl0_inv
	v_and_b32_e32 v36, 0xffff, v36
	v_dual_add_f32 v32, v1, v5 :: v_dual_and_b32 v41, 0xff, v28
	v_add_f32_e32 v27, v0, v4
	v_dual_add_f32 v37, v17, v21 :: v_dual_add_f32 v42, v2, v6
	v_sub_f32_e32 v31, v5, v9
	v_dual_add_f32 v5, v5, v9 :: v_dual_sub_f32 v38, v18, v22
	v_add_f32_e32 v35, v12, v17
	v_dual_add_f32 v39, v13, v18 :: v_dual_sub_f32 v44, v7, v11
	v_add_f32_e32 v18, v18, v22
	v_add_f32_e32 v28, v4, v8
	v_dual_sub_f32 v4, v4, v8 :: v_dual_add_f32 v43, v6, v10
	v_add_f32_e32 v74, v15, v20
	v_add_f32_e32 v45, v3, v7
	;; [unrolled: 1-line block ×3, first 2 shown]
	v_dual_add_f32 v46, v14, v19 :: v_dual_sub_f32 v73, v20, v24
	v_add_f32_e32 v20, v20, v24
	v_dual_add_f32 v8, v27, v8 :: v_dual_add_f32 v9, v32, v9
	v_fma_f32 v27, -0.5, v37, v12
	v_add_f32_e32 v47, v19, v23
	v_dual_sub_f32 v17, v17, v21 :: v_dual_sub_f32 v6, v6, v10
	v_fma_f32 v18, -0.5, v18, v13
	v_sub_f32_e32 v19, v19, v23
	v_fma_f32 v0, -0.5, v28, v0
	v_fma_f32 v1, -0.5, v5, v1
	v_dual_add_f32 v21, v35, v21 :: v_dual_add_f32 v28, v45, v11
	v_add_f32_e32 v12, v39, v22
	v_dual_add_f32 v22, v42, v10 :: v_dual_fmac_f32 v3, -0.5, v7
	v_fmac_f32_e32 v15, -0.5, v20
	v_fmamk_f32 v32, v38, 0x3f5db3d7, v27
	v_fma_f32 v14, -0.5, v47, v14
	v_fma_f32 v2, -0.5, v43, v2
	v_add_f32_e32 v7, v46, v23
	v_fmac_f32_e32 v27, 0xbf5db3d7, v38
	v_add_f32_e32 v23, v74, v24
	v_dual_fmamk_f32 v35, v17, 0xbf5db3d7, v18 :: v_dual_fmamk_f32 v38, v6, 0xbf5db3d7, v3
	v_fmac_f32_e32 v18, 0x3f5db3d7, v17
	v_fmamk_f32 v24, v31, 0x3f5db3d7, v0
	v_dual_fmac_f32 v0, 0xbf5db3d7, v31 :: v_dual_fmamk_f32 v31, v4, 0xbf5db3d7, v1
	v_dual_fmac_f32 v1, 0x3f5db3d7, v4 :: v_dual_sub_f32 v10, v8, v21
	v_dual_add_f32 v4, v8, v21 :: v_dual_add_f32 v5, v9, v12
	v_fmamk_f32 v8, v19, 0xbf5db3d7, v15
	v_dual_fmac_f32 v3, 0x3f5db3d7, v6 :: v_dual_fmamk_f32 v6, v73, 0x3f5db3d7, v14
	v_dual_sub_f32 v11, v9, v12 :: v_dual_add_f32 v12, v22, v7
	v_fmac_f32_e32 v14, 0xbf5db3d7, v73
	v_fmamk_f32 v37, v44, 0x3f5db3d7, v2
	v_dual_fmac_f32 v15, 0x3f5db3d7, v19 :: v_dual_mul_f32 v42, 0x3f5db3d7, v8
	v_sub_f32_e32 v19, v22, v7
	v_mul_f32_e32 v22, -0.5, v27
	v_add_f32_e32 v13, v28, v23
	v_dual_sub_f32 v20, v28, v23 :: v_dual_mul_f32 v39, -0.5, v18
	s_delay_alu instid0(VALU_DEP_3)
	v_dual_mul_f32 v17, 0x3f5db3d7, v35 :: v_dual_fmac_f32 v22, 0x3f5db3d7, v18
	v_mul_f32_e32 v28, 0xbf5db3d7, v32
	v_fmac_f32_e32 v2, 0xbf5db3d7, v44
	v_mul_f32_e32 v44, 0xbf5db3d7, v6
	v_mul_f32_e32 v43, -0.5, v14
	v_dual_mul_f32 v45, -0.5, v15 :: v_dual_fmac_f32 v42, 0.5, v6
	v_dual_fmac_f32 v17, 0.5, v32 :: v_dual_fmac_f32 v28, 0.5, v35
	s_delay_alu instid0(VALU_DEP_4) | instskip(NEXT) | instid1(VALU_DEP_3)
	v_dual_fmac_f32 v39, 0xbf5db3d7, v27 :: v_dual_fmac_f32 v44, 0.5, v8
	v_fmac_f32_e32 v45, 0xbf5db3d7, v14
	v_dual_add_f32 v8, v0, v22 :: v_dual_fmac_f32 v43, 0x3f5db3d7, v15
	s_delay_alu instid0(VALU_DEP_4) | instskip(SKIP_1) | instid1(VALU_DEP_4)
	v_dual_add_f32 v6, v24, v17 :: v_dual_add_f32 v7, v31, v28
	v_dual_sub_f32 v23, v0, v22 :: v_dual_sub_f32 v22, v31, v28
	v_dual_add_f32 v9, v1, v39 :: v_dual_add_f32 v18, v3, v45
	v_dual_sub_f32 v21, v24, v17 :: v_dual_add_f32 v14, v37, v42
	v_dual_sub_f32 v24, v1, v39 :: v_dual_add_f32 v15, v38, v44
	v_dual_add_f32 v17, v2, v43 :: v_dual_sub_f32 v0, v37, v42
	v_sub_f32_e32 v2, v2, v43
	v_sub_f32_e32 v1, v38, v44
	;; [unrolled: 1-line block ×3, first 2 shown]
	ds_store_b128 v97, v[4:7]
	ds_store_b128 v97, v[8:11] offset:16
	ds_store_b128 v97, v[21:24] offset:32
	ds_store_b128 v96, v[12:15]
	ds_store_b128 v96, v[17:20] offset:16
	ds_store_b128 v96, v[0:3] offset:32
	v_mad_u64_u32 v[17:18], null, v41, 40, s[10:11]
	s_waitcnt lgkmcnt(0)
	s_barrier
	buffer_gl0_inv
	s_clause 0x5
	global_load_b128 v[8:11], v[25:26], off
	global_load_b128 v[0:3], v[25:26], off offset:16
	global_load_b64 v[73:74], v[25:26], off offset:32
	global_load_b128 v[12:15], v[17:18], off
	global_load_b128 v[4:7], v[17:18], off offset:16
	global_load_b64 v[75:76], v[17:18], off offset:32
	v_mul_lo_u16 v17, v29, 57
	v_and_b32_e32 v18, 0xffff, v34
	ds_load_2addr_b64 v[20:23], v92 offset0:48 offset1:156
	v_mul_u32_u24_e32 v43, 36, v36
	ds_load_2addr_b64 v[36:39], v93 offset0:56 offset1:164
	v_lshrrev_b16 v32, 11, v17
	v_mul_lo_u16 v17, v33, 57
	v_mul_u32_u24_e32 v34, 36, v18
	v_add_lshl_u32 v94, v43, v41, 3
	s_delay_alu instid0(VALU_DEP_4) | instskip(NEXT) | instid1(VALU_DEP_4)
	v_mul_lo_u16 v19, v32, 36
	v_lshrrev_b16 v35, 11, v17
	s_delay_alu instid0(VALU_DEP_4) | instskip(SKIP_1) | instid1(VALU_DEP_4)
	v_add_lshl_u32 v95, v34, v40, 3
	v_and_b32_e32 v32, 0xffff, v32
	v_sub_nc_u16 v24, v16, v19
	s_delay_alu instid0(VALU_DEP_4)
	v_mul_lo_u16 v28, v35, 36
	ds_load_2addr_b64 v[16:19], v90 offset0:88 offset1:196
	v_mul_u32_u24_e32 v32, 0xd8, v32
	v_and_b32_e32 v33, 0xff, v24
	ds_load_2addr_b64 v[24:27], v91 offset0:136 offset1:244
	v_sub_nc_u16 v42, v30, v28
	ds_load_2addr_b64 v[28:31], v89 offset0:96 offset1:204
	v_and_b32_e32 v34, 0xff, v42
	ds_load_2addr_b64 v[40:43], v87 offset1:108
	s_waitcnt vmcnt(0) lgkmcnt(0)
	s_barrier
	buffer_gl0_inv
	v_mad_u64_u32 v[46:47], null, v34, 40, s[10:11]
	v_dual_mul_f32 v81, v25, v1 :: v_dual_mul_f32 v84, v28, v3
	v_mul_f32_e32 v82, v24, v1
	v_dual_mul_f32 v77, v17, v9 :: v_dual_mul_f32 v80, v20, v11
	v_dual_mul_f32 v78, v16, v9 :: v_dual_mul_f32 v79, v21, v11
	;; [unrolled: 1-line block ×8, first 2 shown]
	v_dual_mul_f32 v111, v38, v76 :: v_dual_fmac_f32 v80, v21, v10
	v_fma_f32 v77, v16, v8, -v77
	v_dual_fmac_f32 v78, v17, v8 :: v_dual_fmac_f32 v105, v23, v14
	v_fma_f32 v102, v18, v12, -v102
	v_dual_fmac_f32 v103, v19, v12 :: v_dual_fmac_f32 v84, v29, v2
	v_fma_f32 v16, v20, v10, -v79
	v_fma_f32 v17, v24, v0, -v81
	v_dual_fmac_f32 v82, v25, v0 :: v_dual_fmac_f32 v109, v31, v6
	v_fma_f32 v18, v28, v2, -v83
	v_fma_f32 v19, v36, v73, -v100
	v_dual_fmac_f32 v101, v37, v73 :: v_dual_add_f32 v24, v40, v16
	v_fma_f32 v20, v22, v14, -v104
	v_fma_f32 v21, v26, v4, -v106
	v_fmac_f32_e32 v107, v27, v4
	v_fma_f32 v22, v30, v6, -v108
	v_fma_f32 v23, v38, v75, -v110
	v_dual_fmac_f32 v111, v39, v75 :: v_dual_sub_f32 v26, v80, v84
	v_dual_add_f32 v25, v16, v18 :: v_dual_add_f32 v30, v17, v19
	v_dual_sub_f32 v16, v16, v18 :: v_dual_add_f32 v37, v82, v101
	s_delay_alu instid0(VALU_DEP_3)
	v_sub_f32_e32 v100, v107, v111
	v_dual_add_f32 v28, v80, v84 :: v_dual_add_f32 v29, v77, v17
	v_dual_add_f32 v27, v41, v80 :: v_dual_add_f32 v36, v78, v82
	v_sub_f32_e32 v31, v82, v101
	v_dual_add_f32 v39, v20, v22 :: v_dual_add_f32 v80, v43, v105
	v_dual_sub_f32 v79, v105, v109 :: v_dual_add_f32 v104, v103, v107
	v_dual_add_f32 v81, v105, v109 :: v_dual_add_f32 v18, v24, v18
	v_dual_add_f32 v82, v102, v21 :: v_dual_add_f32 v83, v21, v23
	v_dual_add_f32 v105, v107, v111 :: v_dual_fmac_f32 v78, -0.5, v37
	v_dual_sub_f32 v17, v17, v19 :: v_dual_add_f32 v38, v42, v20
	v_fma_f32 v40, -0.5, v25, v40
	s_delay_alu instid0(VALU_DEP_4)
	v_dual_fmac_f32 v77, -0.5, v30 :: v_dual_fmac_f32 v102, -0.5, v83
	v_fma_f32 v41, -0.5, v28, v41
	v_dual_sub_f32 v21, v21, v23 :: v_dual_add_f32 v24, v27, v84
	v_add_f32_e32 v19, v29, v19
	v_add_f32_e32 v25, v36, v101
	v_dual_fmac_f32 v103, -0.5, v105 :: v_dual_fmamk_f32 v30, v17, 0xbf5db3d7, v78
	v_sub_f32_e32 v20, v20, v22
	v_add_f32_e32 v22, v38, v22
	v_fma_f32 v42, -0.5, v39, v42
	v_add_f32_e32 v27, v80, v109
	v_dual_fmac_f32 v43, -0.5, v81 :: v_dual_add_f32 v28, v104, v111
	v_dual_add_f32 v23, v82, v23 :: v_dual_fmamk_f32 v36, v16, 0xbf5db3d7, v41
	v_fmamk_f32 v29, v26, 0x3f5db3d7, v40
	v_fmac_f32_e32 v40, 0xbf5db3d7, v26
	v_fmamk_f32 v26, v31, 0x3f5db3d7, v77
	v_dual_fmac_f32 v41, 0x3f5db3d7, v16 :: v_dual_fmac_f32 v78, 0x3f5db3d7, v17
	v_fmac_f32_e32 v77, 0xbf5db3d7, v31
	v_dual_add_f32 v16, v18, v19 :: v_dual_add_f32 v17, v24, v25
	v_dual_sub_f32 v18, v18, v19 :: v_dual_sub_f32 v19, v24, v25
	v_fmamk_f32 v24, v100, 0x3f5db3d7, v102
	v_dual_fmac_f32 v102, 0xbf5db3d7, v100 :: v_dual_fmamk_f32 v25, v21, 0xbf5db3d7, v103
	v_dual_fmac_f32 v103, 0x3f5db3d7, v21 :: v_dual_fmamk_f32 v80, v79, 0x3f5db3d7, v42
	;; [unrolled: 1-line block ×3, first 2 shown]
	v_dual_fmac_f32 v43, 0x3f5db3d7, v20 :: v_dual_add_f32 v20, v22, v23
	v_dual_add_f32 v21, v27, v28 :: v_dual_sub_f32 v22, v22, v23
	v_dual_sub_f32 v23, v27, v28 :: v_dual_mul_f32 v38, -0.5, v78
	v_mul_f32_e32 v28, 0x3f5db3d7, v30
	v_dual_mul_f32 v37, 0xbf5db3d7, v26 :: v_dual_mul_f32 v84, -0.5, v103
	v_dual_mul_f32 v31, -0.5, v77 :: v_dual_mul_f32 v82, -0.5, v102
	s_delay_alu instid0(VALU_DEP_3) | instskip(SKIP_1) | instid1(VALU_DEP_4)
	v_dual_mul_f32 v81, 0x3f5db3d7, v25 :: v_dual_fmac_f32 v28, 0.5, v26
	v_dual_mul_f32 v83, 0xbf5db3d7, v24 :: v_dual_fmac_f32 v38, 0xbf5db3d7, v77
	v_fmac_f32_e32 v37, 0.5, v30
	s_delay_alu instid0(VALU_DEP_4) | instskip(SKIP_2) | instid1(VALU_DEP_3)
	v_dual_fmac_f32 v31, 0x3f5db3d7, v78 :: v_dual_fmac_f32 v82, 0x3f5db3d7, v103
	v_mad_u64_u32 v[44:45], null, v33, 40, s[10:11]
	v_dual_fmac_f32 v81, 0.5, v24 :: v_dual_fmac_f32 v84, 0xbf5db3d7, v102
	v_dual_fmac_f32 v83, 0.5, v25 :: v_dual_add_f32 v26, v40, v31
	v_dual_add_f32 v24, v29, v28 :: v_dual_add_f32 v25, v36, v37
	v_sub_f32_e32 v28, v29, v28
	v_dual_add_f32 v27, v41, v38 :: v_dual_sub_f32 v30, v40, v31
	v_sub_f32_e32 v29, v36, v37
	v_dual_sub_f32 v31, v41, v38 :: v_dual_add_f32 v36, v80, v81
	v_dual_add_f32 v37, v79, v83 :: v_dual_sub_f32 v40, v80, v81
	v_dual_add_f32 v38, v42, v82 :: v_dual_add_f32 v39, v43, v84
	v_dual_sub_f32 v42, v42, v82 :: v_dual_sub_f32 v41, v79, v83
	v_sub_f32_e32 v43, v43, v84
	ds_store_2addr_b64 v95, v[16:17], v[24:25] offset1:6
	ds_store_2addr_b64 v95, v[26:27], v[18:19] offset0:12 offset1:18
	ds_store_2addr_b64 v95, v[28:29], v[30:31] offset0:24 offset1:30
	ds_store_2addr_b64 v94, v[20:21], v[36:37] offset1:6
	ds_store_2addr_b64 v94, v[38:39], v[22:23] offset0:12 offset1:18
	ds_store_2addr_b64 v94, v[40:41], v[42:43] offset0:24 offset1:30
	s_waitcnt lgkmcnt(0)
	s_barrier
	buffer_gl0_inv
	s_clause 0x5
	global_load_b128 v[28:31], v[44:45], off offset:240
	global_load_b128 v[20:23], v[46:47], off offset:240
	;; [unrolled: 1-line block ×4, first 2 shown]
	global_load_b64 v[79:80], v[44:45], off offset:272
	global_load_b64 v[77:78], v[46:47], off offset:272
	ds_load_2addr_b64 v[36:39], v90 offset0:88 offset1:196
	v_and_b32_e32 v35, 0xffff, v35
	ds_load_2addr_b64 v[40:43], v92 offset0:48 offset1:156
	ds_load_2addr_b64 v[44:47], v91 offset0:136 offset1:244
	;; [unrolled: 1-line block ×3, first 2 shown]
	v_add_lshl_u32 v101, v32, v33, 3
	v_mad_u64_u32 v[106:107], null, v88, 40, s[10:11]
	s_delay_alu instid0(VALU_DEP_1) | instskip(NEXT) | instid1(VALU_DEP_2)
	v_add_co_u32 v108, vcc_lo, 0x1000, v106
	v_add_co_ci_u32_e32 v109, vcc_lo, 0, v107, vcc_lo
	s_waitcnt vmcnt(5) lgkmcnt(3)
	v_mul_f32_e32 v110, v37, v29
	s_waitcnt vmcnt(4)
	v_mul_f32_e32 v114, v38, v21
	v_mul_u32_u24_e32 v35, 0xd8, v35
	s_waitcnt lgkmcnt(2)
	v_dual_mul_f32 v111, v36, v29 :: v_dual_mul_f32 v112, v41, v31
	s_waitcnt vmcnt(3) lgkmcnt(1)
	v_dual_mul_f32 v115, v40, v31 :: v_dual_mul_f32 v118, v45, v25
	v_add_lshl_u32 v100, v35, v34, 3
	ds_load_2addr_b64 v[32:35], v93 offset0:56 offset1:164
	ds_load_2addr_b64 v[102:105], v87 offset1:108
	s_waitcnt vmcnt(2)
	v_dual_mul_f32 v117, v42, v23 :: v_dual_mul_f32 v120, v47, v17
	s_waitcnt lgkmcnt(2)
	v_mul_f32_e32 v123, v81, v27
	v_fma_f32 v110, v36, v28, -v110
	v_fma_f32 v36, v40, v30, -v112
	v_fmac_f32_e32 v115, v41, v30
	v_dual_mul_f32 v113, v39, v21 :: v_dual_mul_f32 v122, v82, v27
	v_dual_mul_f32 v116, v43, v23 :: v_dual_mul_f32 v119, v44, v25
	v_mul_f32_e32 v125, v83, v19
	v_fmac_f32_e32 v114, v39, v20
	v_fma_f32 v39, v46, v16, -v120
	v_dual_mul_f32 v121, v46, v17 :: v_dual_mul_f32 v124, v84, v19
	v_fma_f32 v113, v38, v20, -v113
	v_fma_f32 v38, v44, v24, -v118
	;; [unrolled: 1-line block ×3, first 2 shown]
	s_waitcnt vmcnt(0) lgkmcnt(1)
	v_dual_mul_f32 v127, v32, v80 :: v_dual_mul_f32 v128, v35, v78
	v_dual_mul_f32 v126, v33, v80 :: v_dual_mul_f32 v129, v34, v78
	v_fmac_f32_e32 v117, v43, v22
	s_delay_alu instid0(VALU_DEP_3) | instskip(NEXT) | instid1(VALU_DEP_4)
	v_fmac_f32_e32 v127, v33, v79
	v_fma_f32 v33, v34, v77, -v128
	v_fmac_f32_e32 v119, v45, v24
	v_fma_f32 v32, v32, v79, -v126
	s_waitcnt lgkmcnt(0)
	v_dual_add_f32 v34, v102, v36 :: v_dual_fmac_f32 v125, v84, v18
	v_dual_add_f32 v112, v39, v33 :: v_dual_fmac_f32 v123, v82, v26
	v_fmac_f32_e32 v111, v37, v28
	v_fma_f32 v37, v42, v22, -v116
	s_delay_alu instid0(VALU_DEP_4)
	v_dual_fmac_f32 v129, v35, v77 :: v_dual_add_f32 v34, v34, v40
	v_sub_f32_e32 v42, v36, v40
	v_dual_add_f32 v35, v36, v40 :: v_dual_add_f32 v84, v105, v117
	v_add_f32_e32 v36, v103, v115
	v_add_f32_e32 v44, v115, v123
	;; [unrolled: 1-line block ×3, first 2 shown]
	v_sub_f32_e32 v82, v38, v32
	v_fmac_f32_e32 v121, v47, v16
	v_dual_add_f32 v47, v110, v38 :: v_dual_add_f32 v36, v36, v123
	v_fma_f32 v41, v83, v18, -v124
	v_dual_add_f32 v81, v38, v32 :: v_dual_add_f32 v38, v117, v125
	s_delay_alu instid0(VALU_DEP_4) | instskip(NEXT) | instid1(VALU_DEP_4)
	v_dual_sub_f32 v43, v115, v123 :: v_dual_add_f32 v116, v121, v129
	v_dual_add_f32 v115, v113, v39 :: v_dual_add_f32 v40, v47, v32
	v_dual_add_f32 v118, v114, v121 :: v_dual_add_f32 v45, v119, v127
	v_dual_sub_f32 v120, v121, v129 :: v_dual_sub_f32 v83, v119, v127
	s_delay_alu instid0(VALU_DEP_4) | instskip(NEXT) | instid1(VALU_DEP_4)
	v_dual_sub_f32 v119, v37, v41 :: v_dual_fmac_f32 v114, -0.5, v116
	v_dual_sub_f32 v39, v39, v33 :: v_dual_add_f32 v32, v34, v40
	v_add_f32_e32 v121, v37, v41
	v_fmac_f32_e32 v111, -0.5, v45
	v_fma_f32 v44, -0.5, v44, v103
	v_add_f32_e32 v37, v104, v37
	v_dual_sub_f32 v117, v117, v125 :: v_dual_fmamk_f32 v116, v39, 0xbf5db3d7, v114
	v_fma_f32 v102, -0.5, v35, v102
	s_delay_alu instid0(VALU_DEP_3)
	v_dual_fmac_f32 v105, -0.5, v38 :: v_dual_add_f32 v38, v37, v41
	v_fmac_f32_e32 v110, -0.5, v81
	v_dual_add_f32 v41, v115, v33 :: v_dual_sub_f32 v34, v34, v40
	v_fmac_f32_e32 v113, -0.5, v112
	v_add_f32_e32 v45, v46, v127
	v_add_f32_e32 v46, v118, v129
	v_dual_add_f32 v47, v84, v125 :: v_dual_fmac_f32 v114, 0x3f5db3d7, v39
	v_fmamk_f32 v81, v82, 0xbf5db3d7, v111
	v_fmamk_f32 v84, v83, 0x3f5db3d7, v110
	v_fmac_f32_e32 v110, 0xbf5db3d7, v83
	v_fmamk_f32 v103, v43, 0x3f5db3d7, v102
	v_dual_fmac_f32 v102, 0xbf5db3d7, v43 :: v_dual_add_f32 v37, v47, v46
	v_dual_sub_f32 v39, v47, v46 :: v_dual_mul_f32 v46, 0x3f5db3d7, v81
	v_fma_f32 v112, -0.5, v121, v104
	v_fmamk_f32 v104, v42, 0xbf5db3d7, v44
	v_fmamk_f32 v118, v120, 0x3f5db3d7, v113
	v_dual_add_f32 v33, v36, v45 :: v_dual_fmac_f32 v44, 0x3f5db3d7, v42
	v_dual_sub_f32 v35, v36, v45 :: v_dual_fmac_f32 v46, 0.5, v84
	v_add_f32_e32 v36, v38, v41
	v_dual_sub_f32 v38, v38, v41 :: v_dual_fmac_f32 v113, 0xbf5db3d7, v120
	v_fmac_f32_e32 v111, 0x3f5db3d7, v82
	v_fmamk_f32 v115, v119, 0xbf5db3d7, v105
	v_dual_fmac_f32 v105, 0x3f5db3d7, v119 :: v_dual_fmamk_f32 v42, v117, 0x3f5db3d7, v112
	v_fmac_f32_e32 v112, 0xbf5db3d7, v117
	v_dual_mul_f32 v119, 0x3f5db3d7, v116 :: v_dual_add_f32 v40, v103, v46
	v_dual_mul_f32 v120, -0.5, v113 :: v_dual_mul_f32 v117, -0.5, v111
	v_dual_mul_f32 v47, 0xbf5db3d7, v84 :: v_dual_sub_f32 v46, v103, v46
	s_delay_alu instid0(VALU_DEP_3) | instskip(SKIP_1) | instid1(VALU_DEP_4)
	v_fmac_f32_e32 v119, 0.5, v118
	v_mul_f32_e32 v83, -0.5, v110
	v_fmac_f32_e32 v120, 0x3f5db3d7, v114
	v_fmac_f32_e32 v117, 0xbf5db3d7, v110
	v_mul_f32_e32 v121, 0xbf5db3d7, v118
	v_fmac_f32_e32 v47, 0.5, v81
	v_mul_f32_e32 v45, -0.5, v114
	s_delay_alu instid0(VALU_DEP_4) | instskip(SKIP_1) | instid1(VALU_DEP_4)
	v_sub_f32_e32 v84, v44, v117
	v_dual_add_f32 v82, v44, v117 :: v_dual_fmac_f32 v83, 0x3f5db3d7, v111
	v_add_f32_e32 v41, v104, v47
	v_sub_f32_e32 v47, v104, v47
	v_dual_sub_f32 v104, v42, v119 :: v_dual_fmac_f32 v121, 0.5, v116
	v_dual_fmac_f32 v45, 0xbf5db3d7, v113 :: v_dual_sub_f32 v44, v112, v120
	v_add_f32_e32 v81, v102, v83
	v_sub_f32_e32 v83, v102, v83
	s_delay_alu instid0(VALU_DEP_4) | instskip(NEXT) | instid1(VALU_DEP_4)
	v_dual_add_f32 v102, v42, v119 :: v_dual_add_f32 v103, v115, v121
	v_dual_add_f32 v43, v105, v45 :: v_dual_add_f32 v42, v112, v120
	s_barrier
	buffer_gl0_inv
	v_sub_f32_e32 v45, v105, v45
	v_sub_f32_e32 v105, v115, v121
	ds_store_2addr_b64 v101, v[32:33], v[40:41] offset1:36
	ds_store_2addr_b64 v101, v[81:82], v[34:35] offset0:72 offset1:108
	ds_store_2addr_b64 v101, v[46:47], v[83:84] offset0:144 offset1:180
	ds_store_2addr_b64 v100, v[36:37], v[102:103] offset1:36
	ds_store_2addr_b64 v100, v[42:43], v[38:39] offset0:72 offset1:108
	ds_store_2addr_b64 v100, v[104:105], v[44:45] offset0:144 offset1:180
	v_add_co_u32 v81, vcc_lo, 0x1770, v106
	s_waitcnt lgkmcnt(0)
	s_barrier
	buffer_gl0_inv
	s_clause 0x1
	global_load_b128 v[36:39], v[106:107], off offset:1680
	global_load_b128 v[32:35], v[108:109], off offset:1904
	v_add_co_ci_u32_e32 v82, vcc_lo, 0, v107, vcc_lo
	s_clause 0x3
	global_load_b128 v[44:47], v[106:107], off offset:1696
	global_load_b128 v[40:43], v[81:82], off offset:16
	global_load_b64 v[83:84], v[106:107], off offset:1712
	global_load_b64 v[81:82], v[81:82], off offset:32
	ds_load_2addr_b64 v[102:105], v90 offset0:88 offset1:196
	ds_load_2addr_b64 v[106:109], v92 offset0:48 offset1:156
	;; [unrolled: 1-line block ×5, first 2 shown]
	ds_load_2addr_b64 v[122:125], v87 offset1:108
	s_waitcnt vmcnt(5) lgkmcnt(4)
	v_mul_f32_e32 v130, v107, v39
	v_mul_f32_e32 v131, v106, v39
	s_waitcnt vmcnt(4)
	v_mul_f32_e32 v132, v109, v35
	s_waitcnt vmcnt(3) lgkmcnt(3)
	v_mul_f32_e32 v134, v111, v45
	v_mul_f32_e32 v126, v103, v37
	v_fma_f32 v106, v106, v38, -v130
	s_waitcnt vmcnt(0) lgkmcnt(1)
	v_mul_f32_e32 v130, v120, v82
	v_mul_f32_e32 v136, v113, v41
	;; [unrolled: 1-line block ×4, first 2 shown]
	v_fma_f32 v126, v102, v36, -v126
	v_dual_fmac_f32 v130, v121, v81 :: v_dual_fmac_f32 v131, v107, v38
	v_mul_f32_e32 v133, v108, v35
	v_fma_f32 v107, v108, v34, -v132
	v_mul_f32_e32 v135, v110, v45
	v_mul_f32_e32 v108, v118, v84
	;; [unrolled: 1-line block ×4, first 2 shown]
	v_fma_f32 v110, v110, v44, -v134
	s_waitcnt lgkmcnt(0)
	v_dual_add_f32 v132, v124, v107 :: v_dual_fmac_f32 v135, v111, v44
	v_fmac_f32_e32 v108, v119, v83
	v_fmac_f32_e32 v127, v103, v36
	v_mul_f32_e32 v103, v117, v43
	v_dual_mul_f32 v137, v112, v41 :: v_dual_mul_f32 v102, v114, v47
	v_fma_f32 v111, v112, v40, -v136
	v_fma_f32 v112, v114, v46, -v138
	s_delay_alu instid0(VALU_DEP_4)
	v_fma_f32 v103, v116, v42, -v103
	v_dual_add_f32 v114, v123, v131 :: v_dual_fmac_f32 v129, v105, v32
	v_mul_f32_e32 v105, v119, v84
	v_fmac_f32_e32 v102, v115, v46
	v_fma_f32 v128, v104, v32, -v128
	v_dual_mul_f32 v104, v116, v43 :: v_dual_add_f32 v115, v126, v110
	s_delay_alu instid0(VALU_DEP_4) | instskip(NEXT) | instid1(VALU_DEP_4)
	v_fma_f32 v105, v118, v83, -v105
	v_add_f32_e32 v118, v131, v102
	v_fmac_f32_e32 v133, v109, v34
	s_delay_alu instid0(VALU_DEP_4) | instskip(NEXT) | instid1(VALU_DEP_4)
	v_fmac_f32_e32 v104, v117, v42
	v_dual_add_f32 v138, v107, v103 :: v_dual_add_f32 v119, v110, v105
	v_sub_f32_e32 v110, v110, v105
	v_dual_add_f32 v116, v127, v135 :: v_dual_mul_f32 v109, v121, v82
	s_delay_alu instid0(VALU_DEP_3) | instskip(SKIP_2) | instid1(VALU_DEP_4)
	v_dual_fmac_f32 v137, v113, v40 :: v_dual_fmac_f32 v126, -0.5, v119
	v_add_f32_e32 v113, v122, v106
	v_sub_f32_e32 v139, v107, v103
	v_fma_f32 v109, v120, v81, -v109
	s_delay_alu instid0(VALU_DEP_4)
	v_add_f32_e32 v136, v129, v137
	v_add_f32_e32 v120, v135, v108
	v_fma_f32 v118, -0.5, v118, v123
	v_add_f32_e32 v107, v113, v112
	v_add_f32_e32 v121, v106, v112
	v_sub_f32_e32 v106, v106, v112
	v_add_f32_e32 v112, v111, v109
	v_dual_add_f32 v134, v125, v133 :: v_dual_sub_f32 v117, v131, v102
	v_fmac_f32_e32 v127, -0.5, v120
	v_sub_f32_e32 v131, v135, v108
	s_delay_alu instid0(VALU_DEP_3) | instskip(SKIP_4) | instid1(VALU_DEP_3)
	v_dual_add_f32 v135, v128, v111 :: v_dual_add_f32 v120, v134, v104
	v_add_f32_e32 v113, v114, v102
	v_add_f32_e32 v102, v137, v130
	v_dual_fmac_f32 v128, -0.5, v112 :: v_dual_add_f32 v105, v115, v105
	v_add_f32_e32 v114, v133, v104
	v_dual_add_f32 v108, v116, v108 :: v_dual_fmac_f32 v129, -0.5, v102
	v_dual_fmamk_f32 v112, v110, 0xbf5db3d7, v127 :: v_dual_sub_f32 v111, v111, v109
	s_delay_alu instid0(VALU_DEP_4) | instskip(SKIP_4) | instid1(VALU_DEP_4)
	v_add_f32_e32 v102, v107, v105
	v_fma_f32 v116, -0.5, v121, v122
	v_sub_f32_e32 v133, v133, v104
	v_add_f32_e32 v119, v132, v103
	v_dual_fmac_f32 v125, -0.5, v114 :: v_dual_fmamk_f32 v122, v106, 0xbf5db3d7, v118
	v_fmamk_f32 v114, v117, 0x3f5db3d7, v116
	v_dual_fmac_f32 v116, 0xbf5db3d7, v117 :: v_dual_add_f32 v103, v113, v108
	v_fmac_f32_e32 v118, 0x3f5db3d7, v106
	v_dual_sub_f32 v104, v107, v105 :: v_dual_sub_f32 v105, v113, v108
	v_fmamk_f32 v113, v131, 0x3f5db3d7, v126
	v_fmac_f32_e32 v126, 0xbf5db3d7, v131
	v_fmac_f32_e32 v127, 0x3f5db3d7, v110
	v_fmamk_f32 v110, v111, 0xbf5db3d7, v129
	v_add_f32_e32 v109, v135, v109
	v_sub_f32_e32 v115, v137, v130
	v_add_f32_e32 v121, v136, v130
	v_fma_f32 v130, -0.5, v138, v124
	v_mul_f32_e32 v124, 0x3f5db3d7, v110
	v_sub_f32_e32 v108, v119, v109
	v_add_f32_e32 v106, v119, v109
	v_add_f32_e32 v107, v120, v121
	v_dual_sub_f32 v109, v120, v121 :: v_dual_fmamk_f32 v120, v133, 0x3f5db3d7, v130
	v_fmac_f32_e32 v130, 0xbf5db3d7, v133
	v_fmac_f32_e32 v129, 0x3f5db3d7, v111
	v_fmamk_f32 v111, v115, 0x3f5db3d7, v128
	v_fmac_f32_e32 v128, 0xbf5db3d7, v115
	v_mul_f32_e32 v115, 0x3f5db3d7, v112
	s_delay_alu instid0(VALU_DEP_3) | instskip(NEXT) | instid1(VALU_DEP_3)
	v_dual_mul_f32 v119, -0.5, v126 :: v_dual_mul_f32 v132, 0xbf5db3d7, v111
	v_mul_f32_e32 v133, -0.5, v128
	s_delay_alu instid0(VALU_DEP_2) | instskip(NEXT) | instid1(VALU_DEP_1)
	v_dual_fmac_f32 v115, 0.5, v113 :: v_dual_fmac_f32 v132, 0.5, v110
	v_dual_add_f32 v110, v114, v115 :: v_dual_mul_f32 v117, 0xbf5db3d7, v113
	s_delay_alu instid0(VALU_DEP_1) | instskip(SKIP_3) | instid1(VALU_DEP_3)
	v_dual_fmac_f32 v117, 0.5, v112 :: v_dual_sub_f32 v112, v114, v115
	v_fmac_f32_e32 v119, 0x3f5db3d7, v127
	v_fmamk_f32 v131, v139, 0xbf5db3d7, v125
	v_mul_f32_e32 v121, -0.5, v127
	v_dual_sub_f32 v113, v122, v117 :: v_dual_add_f32 v114, v116, v119
	v_sub_f32_e32 v116, v116, v119
	v_dual_fmac_f32 v124, 0.5, v111 :: v_dual_add_f32 v111, v122, v117
	s_delay_alu instid0(VALU_DEP_4) | instskip(NEXT) | instid1(VALU_DEP_2)
	v_fmac_f32_e32 v121, 0xbf5db3d7, v126
	v_dual_fmac_f32 v125, 0x3f5db3d7, v139 :: v_dual_add_f32 v122, v120, v124
	v_dual_sub_f32 v124, v120, v124 :: v_dual_mul_f32 v123, -0.5, v129
	v_fmac_f32_e32 v133, 0x3f5db3d7, v129
	s_delay_alu instid0(VALU_DEP_4) | instskip(SKIP_1) | instid1(VALU_DEP_3)
	v_add_f32_e32 v115, v118, v121
	v_sub_f32_e32 v117, v118, v121
	v_dual_fmac_f32 v123, 0xbf5db3d7, v128 :: v_dual_add_f32 v118, v130, v133
	s_delay_alu instid0(VALU_DEP_1)
	v_dual_sub_f32 v120, v130, v133 :: v_dual_add_f32 v119, v125, v123
	v_sub_f32_e32 v121, v125, v123
	v_add_f32_e32 v123, v131, v132
	v_sub_f32_e32 v125, v131, v132
	ds_store_b64 v87, v[110:111] offset:1728
	ds_store_b64 v87, v[114:115] offset:3456
	;; [unrolled: 1-line block ×5, first 2 shown]
	ds_store_2addr_b64 v87, v[102:103], v[106:107] offset1:108
	ds_store_b64 v87, v[122:123] offset:2592
	ds_store_b64 v87, v[118:119] offset:4320
	;; [unrolled: 1-line block ×5, first 2 shown]
	s_waitcnt lgkmcnt(0)
	s_barrier
	buffer_gl0_inv
	global_load_b64 v[85:86], v[85:86], off offset:2176
	v_add_co_u32 v102, vcc_lo, 0x2880, v98
	v_add_co_ci_u32_e32 v103, vcc_lo, 0, v99, vcc_lo
	s_clause 0x3
	global_load_b64 v[114:115], v[102:103], off offset:864
	global_load_b64 v[116:117], v[102:103], off offset:1728
	;; [unrolled: 1-line block ×4, first 2 shown]
	v_add_co_u32 v102, vcc_lo, 0x3000, v98
	v_add_co_ci_u32_e32 v103, vcc_lo, 0, v99, vcc_lo
	v_add_co_u32 v98, vcc_lo, 0x4000, v98
	v_add_co_ci_u32_e32 v99, vcc_lo, 0, v99, vcc_lo
	s_clause 0x6
	global_load_b64 v[122:123], v[102:103], off offset:2400
	global_load_b64 v[124:125], v[102:103], off offset:3264
	;; [unrolled: 1-line block ×7, first 2 shown]
	ds_load_2addr_b64 v[102:105], v87 offset1:108
	s_waitcnt vmcnt(11) lgkmcnt(0)
	v_mul_f32_e32 v106, v103, v86
	v_mul_f32_e32 v107, v102, v86
	s_delay_alu instid0(VALU_DEP_2) | instskip(NEXT) | instid1(VALU_DEP_2)
	v_fma_f32 v106, v102, v85, -v106
	v_fmac_f32_e32 v107, v103, v85
	s_waitcnt vmcnt(10)
	v_mul_f32_e32 v85, v105, v115
	v_mul_f32_e32 v86, v104, v115
	ds_store_b64 v87, v[106:107]
	ds_load_2addr_b64 v[106:109], v90 offset0:88 offset1:196
	ds_load_2addr_b64 v[110:113], v92 offset0:48 offset1:156
	v_fma_f32 v85, v104, v114, -v85
	v_fmac_f32_e32 v86, v105, v114
	ds_load_2addr_b64 v[102:105], v91 offset0:136 offset1:244
	s_waitcnt vmcnt(9) lgkmcnt(2)
	v_mul_f32_e32 v114, v107, v117
	s_waitcnt vmcnt(8)
	v_dual_mul_f32 v135, v106, v117 :: v_dual_mul_f32 v136, v109, v119
	s_waitcnt vmcnt(7) lgkmcnt(1)
	v_dual_mul_f32 v137, v108, v119 :: v_dual_mul_f32 v138, v111, v121
	v_fma_f32 v134, v106, v116, -v114
	s_delay_alu instid0(VALU_DEP_3)
	v_fmac_f32_e32 v135, v107, v116
	ds_load_2addr_b64 v[114:117], v89 offset0:96 offset1:204
	v_fma_f32 v136, v108, v118, -v136
	v_fmac_f32_e32 v137, v109, v118
	v_mul_f32_e32 v119, v110, v121
	ds_load_2addr_b64 v[106:109], v93 offset0:56 offset1:164
	v_fma_f32 v118, v110, v120, -v138
	s_waitcnt vmcnt(6)
	v_mul_f32_e32 v110, v113, v123
	s_waitcnt vmcnt(4) lgkmcnt(2)
	v_mul_f32_e32 v121, v104, v127
	v_fmac_f32_e32 v119, v111, v120
	v_mul_f32_e32 v111, v112, v123
	v_mul_f32_e32 v120, v105, v127
	v_fma_f32 v110, v112, v122, -v110
	v_dual_mul_f32 v112, v103, v125 :: v_dual_fmac_f32 v121, v105, v126
	s_delay_alu instid0(VALU_DEP_4) | instskip(SKIP_2) | instid1(VALU_DEP_4)
	v_fmac_f32_e32 v111, v113, v122
	v_mul_f32_e32 v113, v102, v125
	v_fma_f32 v120, v104, v126, -v120
	v_fma_f32 v112, v102, v124, -v112
	v_add_nc_u32_e32 v138, 0x800, v87
	v_add_nc_u32_e32 v125, 0x1400, v87
	v_fmac_f32_e32 v113, v103, v124
	s_waitcnt vmcnt(3) lgkmcnt(1)
	v_mul_f32_e32 v102, v115, v129
	s_waitcnt vmcnt(2)
	v_dual_mul_f32 v103, v114, v129 :: v_dual_mul_f32 v104, v117, v131
	s_waitcnt vmcnt(1) lgkmcnt(0)
	v_dual_mul_f32 v105, v116, v131 :: v_dual_mul_f32 v122, v107, v133
	v_fma_f32 v102, v114, v128, -v102
	v_mul_f32_e32 v123, v106, v133
	s_waitcnt vmcnt(0)
	v_dual_fmac_f32 v103, v115, v128 :: v_dual_mul_f32 v114, v109, v99
	v_mul_f32_e32 v115, v108, v99
	v_add_nc_u32_e32 v124, 0x1c00, v87
	v_fma_f32 v104, v116, v130, -v104
	v_fmac_f32_e32 v105, v117, v130
	v_fma_f32 v122, v106, v132, -v122
	v_fmac_f32_e32 v123, v107, v132
	;; [unrolled: 2-line block ×3, first 2 shown]
	ds_store_2addr_b64 v138, v[136:137], v[118:119] offset0:68 offset1:176
	ds_store_2addr_b64 v125, v[120:121], v[102:103] offset0:116 offset1:224
	;; [unrolled: 1-line block ×5, first 2 shown]
	ds_store_b64 v87, v[114:115] offset:9504
	s_waitcnt lgkmcnt(0)
	s_barrier
	buffer_gl0_inv
	ds_load_2addr_b64 v[102:105], v91 offset0:136 offset1:244
	ds_load_2addr_b64 v[106:109], v93 offset0:56 offset1:164
	ds_load_2addr_b64 v[110:113], v87 offset1:108
	ds_load_2addr_b64 v[114:117], v92 offset0:48 offset1:156
	ds_load_2addr_b64 v[118:121], v90 offset0:88 offset1:196
	;; [unrolled: 1-line block ×3, first 2 shown]
	s_waitcnt lgkmcnt(0)
	s_barrier
	buffer_gl0_inv
	v_dual_add_f32 v86, v103, v107 :: v_dual_add_f32 v137, v105, v109
	v_sub_f32_e32 v98, v102, v106
	v_add_f32_e32 v132, v113, v117
	v_sub_f32_e32 v133, v117, v125
	v_dual_add_f32 v117, v117, v125 :: v_dual_add_f32 v134, v120, v104
	v_dual_add_f32 v135, v104, v108 :: v_dual_add_f32 v136, v121, v105
	v_sub_f32_e32 v104, v104, v108
	v_fma_f32 v86, -0.5, v86, v119
	v_dual_fmac_f32 v121, -0.5, v137 :: v_dual_add_f32 v128, v114, v122
	v_fmac_f32_e32 v113, -0.5, v117
	v_fma_f32 v117, -0.5, v135, v120
	s_delay_alu instid0(VALU_DEP_4)
	v_fmamk_f32 v120, v98, 0x3f5db3d7, v86
	v_fmac_f32_e32 v86, 0xbf5db3d7, v98
	v_fmamk_f32 v98, v104, 0x3f5db3d7, v121
	v_fmac_f32_e32 v121, 0xbf5db3d7, v104
	v_add_f32_e32 v127, v111, v115
	v_dual_sub_f32 v99, v103, v107 :: v_dual_add_f32 v126, v110, v114
	v_add_f32_e32 v103, v119, v103
	v_add_f32_e32 v129, v115, v123
	v_sub_f32_e32 v115, v115, v123
	v_add_f32_e32 v119, v127, v123
	v_fma_f32 v110, -0.5, v128, v110
	v_add_f32_e32 v123, v132, v125
	v_add_f32_e32 v125, v136, v109
	v_dual_add_f32 v85, v102, v106 :: v_dual_add_f32 v130, v112, v116
	s_delay_alu instid0(VALU_DEP_4) | instskip(NEXT) | instid1(VALU_DEP_3)
	v_fmamk_f32 v127, v115, 0xbf5db3d7, v110
	v_dual_fmac_f32 v110, 0x3f5db3d7, v115 :: v_dual_add_f32 v115, v123, v125
	v_sub_f32_e32 v123, v123, v125
	v_mul_f32_e32 v125, 0xbf5db3d7, v86
	v_dual_mul_f32 v86, -0.5, v86 :: v_dual_add_f32 v131, v116, v124
	v_sub_f32_e32 v116, v116, v124
	v_dual_add_f32 v102, v118, v102 :: v_dual_sub_f32 v105, v105, v109
	v_sub_f32_e32 v114, v114, v122
	s_delay_alu instid0(VALU_DEP_4) | instskip(SKIP_2) | instid1(VALU_DEP_1)
	v_fma_f32 v112, -0.5, v131, v112
	v_mul_f32_e32 v131, 0xbf5db3d7, v98
	v_dual_mul_f32 v98, 0.5, v98 :: v_dual_add_f32 v107, v103, v107
	v_dual_add_f32 v106, v102, v106 :: v_dual_add_f32 v103, v119, v107
	v_sub_f32_e32 v109, v119, v107
	v_fmamk_f32 v119, v116, 0x3f5db3d7, v113
	v_fmac_f32_e32 v113, 0xbf5db3d7, v116
	v_mul_f32_e32 v116, 0xbf5db3d7, v120
	v_mul_f32_e32 v120, 0.5, v120
	v_fma_f32 v85, -0.5, v85, v118
	v_add_f32_e32 v118, v126, v122
	v_add_f32_e32 v122, v130, v124
	;; [unrolled: 1-line block ×3, first 2 shown]
	v_mul_f32_e32 v130, -0.5, v121
	v_fmamk_f32 v126, v99, 0xbf5db3d7, v85
	v_fmac_f32_e32 v85, 0x3f5db3d7, v99
	v_dual_fmamk_f32 v99, v105, 0xbf5db3d7, v117 :: v_dual_add_f32 v102, v118, v106
	v_sub_f32_e32 v108, v118, v106
	s_delay_alu instid0(VALU_DEP_4) | instskip(SKIP_1) | instid1(VALU_DEP_4)
	v_fmac_f32_e32 v116, 0.5, v126
	v_fma_f32 v111, -0.5, v129, v111
	v_fmac_f32_e32 v131, 0.5, v99
	v_fmac_f32_e32 v98, 0x3f5db3d7, v99
	v_dual_fmamk_f32 v118, v133, 0xbf5db3d7, v112 :: v_dual_mul_f32 v129, 0xbf5db3d7, v121
	s_delay_alu instid0(VALU_DEP_4)
	v_fmamk_f32 v128, v114, 0x3f5db3d7, v111
	v_dual_fmac_f32 v111, 0xbf5db3d7, v114 :: v_dual_add_f32 v114, v122, v124
	v_sub_f32_e32 v122, v122, v124
	v_add_f32_e32 v104, v127, v116
	v_sub_f32_e32 v124, v127, v116
	v_dual_add_f32 v116, v118, v131 :: v_dual_fmac_f32 v117, 0x3f5db3d7, v105
	v_dual_fmac_f32 v120, 0x3f5db3d7, v126 :: v_dual_fmac_f32 v125, -0.5, v85
	v_fmac_f32_e32 v86, 0x3f5db3d7, v85
	v_fmac_f32_e32 v112, 0x3f5db3d7, v133
	s_delay_alu instid0(VALU_DEP_4)
	v_fmac_f32_e32 v130, 0x3f5db3d7, v117
	v_fmac_f32_e32 v129, -0.5, v117
	v_dual_add_f32 v105, v128, v120 :: v_dual_add_f32 v106, v110, v125
	v_dual_add_f32 v107, v111, v86 :: v_dual_sub_f32 v126, v110, v125
	v_sub_f32_e32 v125, v128, v120
	v_sub_f32_e32 v127, v111, v86
	v_add_f32_e32 v117, v119, v98
	v_add_f32_e32 v121, v113, v130
	v_dual_sub_f32 v113, v113, v130 :: v_dual_sub_f32 v110, v118, v131
	v_add_f32_e32 v120, v112, v129
	v_dual_sub_f32 v112, v112, v129 :: v_dual_sub_f32 v111, v119, v98
	ds_store_b128 v97, v[102:105]
	ds_store_b128 v97, v[106:109] offset:16
	ds_store_b128 v97, v[124:127] offset:32
	ds_store_b128 v96, v[114:117]
	ds_store_b128 v96, v[120:123] offset:16
	ds_store_b128 v96, v[110:113] offset:32
	s_waitcnt lgkmcnt(0)
	s_barrier
	buffer_gl0_inv
	ds_load_2addr_b64 v[96:99], v90 offset0:88 offset1:196
	ds_load_2addr_b64 v[102:105], v92 offset0:48 offset1:156
	;; [unrolled: 1-line block ×5, first 2 shown]
	ds_load_2addr_b64 v[118:121], v87 offset1:108
	s_waitcnt lgkmcnt(0)
	s_barrier
	buffer_gl0_inv
	v_mul_f32_e32 v122, v13, v99
	v_mul_f32_e32 v86, v11, v103
	;; [unrolled: 1-line block ×7, first 2 shown]
	v_dual_mul_f32 v7, v7, v112 :: v_dual_fmac_f32 v86, v10, v102
	v_fmac_f32_e32 v124, v0, v106
	v_fma_f32 v0, v0, v107, -v1
	v_fmac_f32_e32 v125, v2, v110
	v_fma_f32 v1, v2, v111, -v3
	;; [unrolled: 2-line block ×3, first 2 shown]
	v_add_f32_e32 v6, v118, v86
	v_mul_f32_e32 v126, v5, v109
	v_mul_f32_e32 v128, v74, v115
	;; [unrolled: 1-line block ×3, first 2 shown]
	v_fmac_f32_e32 v122, v12, v98
	v_dual_add_f32 v6, v6, v125 :: v_dual_mul_f32 v5, v5, v108
	v_fmac_f32_e32 v126, v4, v108
	v_dual_fmac_f32 v128, v73, v114 :: v_dual_add_f32 v7, v86, v125
	s_delay_alu instid0(VALU_DEP_3) | instskip(SKIP_4) | instid1(VALU_DEP_4)
	v_fma_f32 v2, v4, v109, -v5
	v_fma_f32 v4, v73, v115, -v74
	v_mul_f32_e32 v85, v9, v97
	v_mul_f32_e32 v9, v9, v96
	v_add_f32_e32 v73, v124, v128
	v_sub_f32_e32 v74, v0, v4
	s_delay_alu instid0(VALU_DEP_4) | instskip(NEXT) | instid1(VALU_DEP_4)
	v_fmac_f32_e32 v85, v8, v96
	v_fma_f32 v8, v8, v97, -v9
	v_mul_f32_e32 v11, v11, v102
	v_add_f32_e32 v102, v122, v126
	s_delay_alu instid0(VALU_DEP_2) | instskip(SKIP_1) | instid1(VALU_DEP_1)
	v_fma_f32 v9, v10, v103, -v11
	v_mul_f32_e32 v10, v76, v116
	v_fma_f32 v5, v75, v117, -v10
	s_delay_alu instid0(VALU_DEP_3) | instskip(SKIP_3) | instid1(VALU_DEP_3)
	v_sub_f32_e32 v10, v9, v1
	v_mul_f32_e32 v123, v15, v105
	v_mul_f32_e32 v13, v13, v98
	;; [unrolled: 1-line block ×3, first 2 shown]
	v_fmac_f32_e32 v123, v14, v104
	v_sub_f32_e32 v104, v2, v5
	v_mul_f32_e32 v129, v76, v117
	v_fma_f32 v11, v12, v99, -v13
	v_fma_f32 v12, v14, v105, -v15
	v_add_f32_e32 v96, v123, v127
	v_add_f32_e32 v13, v119, v9
	v_fmac_f32_e32 v129, v75, v116
	v_add_f32_e32 v105, v11, v2
	v_sub_f32_e32 v97, v12, v3
	v_fma_f32 v96, -0.5, v96, v120
	v_add_f32_e32 v2, v2, v5
	v_add_f32_e32 v103, v126, v129
	;; [unrolled: 1-line block ×4, first 2 shown]
	s_delay_alu instid0(VALU_DEP_4) | instskip(NEXT) | instid1(VALU_DEP_4)
	v_dual_sub_f32 v106, v126, v129 :: v_dual_fmac_f32 v11, -0.5, v2
	v_fmac_f32_e32 v122, -0.5, v103
	v_fmamk_f32 v103, v97, 0xbf5db3d7, v96
	v_dual_fmac_f32 v96, 0x3f5db3d7, v97 :: v_dual_add_f32 v15, v85, v124
	v_add_f32_e32 v98, v121, v12
	v_dual_add_f32 v13, v13, v1 :: v_dual_add_f32 v4, v75, v4
	v_fmac_f32_e32 v8, -0.5, v0
	s_delay_alu instid0(VALU_DEP_4) | instskip(SKIP_2) | instid1(VALU_DEP_3)
	v_add_f32_e32 v15, v15, v128
	v_dual_add_f32 v9, v9, v1 :: v_dual_add_f32 v12, v12, v3
	v_add_f32_e32 v75, v98, v3
	v_dual_add_f32 v1, v13, v4 :: v_dual_add_f32 v0, v6, v15
	v_sub_f32_e32 v2, v6, v15
	v_fmamk_f32 v15, v106, 0x3f5db3d7, v11
	v_fmac_f32_e32 v11, 0xbf5db3d7, v106
	v_sub_f32_e32 v3, v13, v4
	v_fmamk_f32 v13, v104, 0xbf5db3d7, v122
	v_fmac_f32_e32 v122, 0x3f5db3d7, v104
	v_sub_f32_e32 v14, v86, v125
	v_mul_f32_e32 v104, 0xbf5db3d7, v11
	v_sub_f32_e32 v76, v124, v128
	v_add_f32_e32 v86, v120, v123
	v_dual_mul_f32 v106, -0.5, v11 :: v_dual_fmac_f32 v121, -0.5, v12
	s_delay_alu instid0(VALU_DEP_4)
	v_fmac_f32_e32 v104, -0.5, v122
	v_fma_f32 v98, -0.5, v9, v119
	v_fmac_f32_e32 v85, -0.5, v73
	v_add_f32_e32 v73, v86, v127
	v_fma_f32 v86, -0.5, v7, v118
	v_add_f32_e32 v7, v102, v129
	v_fmamk_f32 v102, v14, 0x3f5db3d7, v98
	v_fmac_f32_e32 v98, 0xbf5db3d7, v14
	v_fmamk_f32 v14, v76, 0x3f5db3d7, v8
	v_fmamk_f32 v12, v10, 0xbf5db3d7, v86
	v_fmac_f32_e32 v86, 0x3f5db3d7, v10
	v_fmamk_f32 v10, v74, 0xbf5db3d7, v85
	v_add_f32_e32 v4, v73, v7
	v_dual_sub_f32 v6, v73, v7 :: v_dual_mul_f32 v73, 0xbf5db3d7, v14
	v_fmac_f32_e32 v8, 0xbf5db3d7, v76
	v_fmac_f32_e32 v85, 0x3f5db3d7, v74
	;; [unrolled: 1-line block ×3, first 2 shown]
	s_delay_alu instid0(VALU_DEP_4) | instskip(NEXT) | instid1(VALU_DEP_4)
	v_fmac_f32_e32 v73, 0.5, v10
	v_dual_sub_f32 v99, v123, v127 :: v_dual_mul_f32 v74, 0xbf5db3d7, v8
	v_mul_f32_e32 v76, -0.5, v8
	s_delay_alu instid0(VALU_DEP_3)
	v_add_f32_e32 v8, v12, v73
	v_sub_f32_e32 v12, v12, v73
	v_add_f32_e32 v9, v105, v5
	v_fmamk_f32 v97, v99, 0x3f5db3d7, v121
	v_fmac_f32_e32 v121, 0xbf5db3d7, v99
	v_mul_f32_e32 v99, 0xbf5db3d7, v15
	v_mul_f32_e32 v105, 0.5, v15
	v_add_f32_e32 v5, v75, v9
	v_sub_f32_e32 v7, v75, v9
	v_dual_mul_f32 v75, 0.5, v14 :: v_dual_fmac_f32 v74, -0.5, v85
	v_fmac_f32_e32 v76, 0x3f5db3d7, v85
	v_fmac_f32_e32 v99, 0.5, v13
	v_fmac_f32_e32 v105, 0x3f5db3d7, v13
	s_delay_alu instid0(VALU_DEP_4)
	v_fmac_f32_e32 v75, 0x3f5db3d7, v10
	v_add_f32_e32 v10, v86, v74
	v_add_f32_e32 v11, v98, v76
	v_sub_f32_e32 v14, v86, v74
	v_sub_f32_e32 v15, v98, v76
	v_add_f32_e32 v9, v102, v75
	v_sub_f32_e32 v13, v102, v75
	v_dual_add_f32 v73, v103, v99 :: v_dual_add_f32 v74, v97, v105
	v_dual_add_f32 v75, v96, v104 :: v_dual_add_f32 v76, v121, v106
	v_sub_f32_e32 v96, v96, v104
	v_sub_f32_e32 v86, v97, v105
	;; [unrolled: 1-line block ×4, first 2 shown]
	ds_store_2addr_b64 v95, v[0:1], v[8:9] offset1:6
	ds_store_2addr_b64 v95, v[10:11], v[2:3] offset0:12 offset1:18
	ds_store_2addr_b64 v95, v[12:13], v[14:15] offset0:24 offset1:30
	ds_store_2addr_b64 v94, v[4:5], v[73:74] offset1:6
	ds_store_2addr_b64 v94, v[75:76], v[6:7] offset0:12 offset1:18
	ds_store_2addr_b64 v94, v[85:86], v[96:97] offset0:24 offset1:30
	s_waitcnt lgkmcnt(0)
	s_barrier
	buffer_gl0_inv
	ds_load_2addr_b64 v[2:5], v90 offset0:88 offset1:196
	ds_load_2addr_b64 v[6:9], v92 offset0:48 offset1:156
	;; [unrolled: 1-line block ×5, first 2 shown]
	ds_load_2addr_b64 v[102:105], v87 offset1:108
	s_waitcnt lgkmcnt(0)
	s_barrier
	buffer_gl0_inv
	v_mad_u64_u32 v[0:1], null, s6, v72, 0
	s_mul_hi_u32 s6, s4, 0x6c0
	v_mul_f32_e32 v99, v21, v5
	v_mul_f32_e32 v21, v21, v4
	;; [unrolled: 1-line block ×4, first 2 shown]
	v_dual_mul_f32 v109, v78, v97 :: v_dual_mul_f32 v86, v27, v74
	v_mul_f32_e32 v106, v23, v9
	v_mul_f32_e32 v23, v23, v8
	;; [unrolled: 1-line block ×4, first 2 shown]
	v_fmac_f32_e32 v107, v16, v12
	v_fmac_f32_e32 v109, v77, v96
	v_mul_f32_e32 v15, v29, v2
	v_mul_f32_e32 v27, v27, v73
	v_dual_fmac_f32 v85, v24, v10 :: v_dual_fmac_f32 v86, v26, v73
	v_fmac_f32_e32 v106, v22, v8
	v_fma_f32 v8, v18, v76, -v19
	v_sub_f32_e32 v73, v107, v109
	v_mul_f32_e32 v25, v25, v10
	v_fma_f32 v10, v20, v5, -v21
	v_fma_f32 v5, v22, v9, -v23
	v_mul_f32_e32 v14, v29, v3
	v_fma_f32 v15, v28, v3, -v15
	v_fma_f32 v3, v24, v11, -v25
	s_delay_alu instid0(VALU_DEP_4) | instskip(SKIP_4) | instid1(VALU_DEP_4)
	v_dual_mul_f32 v98, v80, v95 :: v_dual_sub_f32 v25, v5, v8
	v_mul_f32_e32 v29, v31, v7
	v_mul_f32_e32 v31, v31, v6
	v_dual_mul_f32 v80, v80, v94 :: v_dual_mul_f32 v17, v17, v12
	v_mul_f32_e32 v78, v78, v96
	v_fmac_f32_e32 v29, v30, v6
	v_fmac_f32_e32 v14, v28, v2
	v_fma_f32 v2, v30, v7, -v31
	v_fma_f32 v6, v26, v74, -v27
	s_delay_alu instid0(VALU_DEP_4)
	v_dual_fmac_f32 v99, v20, v4 :: v_dual_add_f32 v12, v29, v86
	v_fma_f32 v4, v79, v95, -v80
	v_fma_f32 v7, v16, v13, -v17
	;; [unrolled: 1-line block ×3, first 2 shown]
	v_sub_f32_e32 v13, v2, v6
	v_add_f32_e32 v16, v103, v2
	v_add_f32_e32 v21, v15, v3
	v_fma_f32 v74, -0.5, v12, v102
	v_fmac_f32_e32 v98, v79, v94
	v_fmac_f32_e32 v108, v18, v75
	v_add_f32_e32 v2, v2, v6
	v_add_f32_e32 v18, v14, v85
	v_dual_sub_f32 v30, v7, v9 :: v_dual_add_f32 v31, v10, v7
	v_dual_add_f32 v7, v7, v9 :: v_dual_add_f32 v6, v16, v6
	v_add_f32_e32 v16, v21, v4
	v_fmamk_f32 v21, v13, 0xbf5db3d7, v74
	v_add_f32_e32 v11, v102, v29
	v_sub_f32_e32 v17, v29, v86
	v_dual_add_f32 v29, v107, v109 :: v_dual_add_f32 v12, v18, v98
	s_delay_alu instid0(VALU_DEP_3)
	v_dual_fmac_f32 v10, -0.5, v7 :: v_dual_add_f32 v11, v11, v86
	v_dual_add_f32 v19, v85, v98 :: v_dual_sub_f32 v20, v3, v4
	v_dual_add_f32 v3, v3, v4 :: v_dual_add_f32 v26, v105, v5
	v_add_f32_e32 v28, v99, v107
	v_fma_f32 v75, -0.5, v2, v103
	v_dual_fmac_f32 v99, -0.5, v29 :: v_dual_add_f32 v2, v11, v12
	v_sub_f32_e32 v4, v11, v12
	v_fmamk_f32 v12, v73, 0x3f5db3d7, v10
	v_dual_add_f32 v5, v5, v8 :: v_dual_fmac_f32 v14, -0.5, v19
	v_dual_add_f32 v19, v26, v8 :: v_dual_add_f32 v8, v28, v109
	s_delay_alu instid0(VALU_DEP_3) | instskip(SKIP_2) | instid1(VALU_DEP_3)
	v_dual_fmamk_f32 v11, v30, 0xbf5db3d7, v99 :: v_dual_mul_f32 v28, 0.5, v12
	v_dual_add_f32 v23, v104, v106 :: v_dual_add_f32 v24, v106, v108
	v_fmac_f32_e32 v15, -0.5, v3
	v_dual_add_f32 v9, v31, v9 :: v_dual_fmac_f32 v28, 0x3f5db3d7, v11
	v_sub_f32_e32 v22, v85, v98
	s_delay_alu instid0(VALU_DEP_4)
	v_add_f32_e32 v18, v23, v108
	v_fma_f32 v23, -0.5, v24, v104
	v_fmamk_f32 v24, v17, 0x3f5db3d7, v75
	v_fmac_f32_e32 v75, 0xbf5db3d7, v17
	v_fmamk_f32 v17, v22, 0x3f5db3d7, v15
	v_fmac_f32_e32 v15, 0xbf5db3d7, v22
	v_sub_f32_e32 v27, v106, v108
	v_fmac_f32_e32 v105, -0.5, v5
	v_fmac_f32_e32 v10, 0xbf5db3d7, v73
	v_fmac_f32_e32 v74, 0x3f5db3d7, v13
	v_fmamk_f32 v13, v20, 0xbf5db3d7, v14
	v_add_f32_e32 v3, v6, v16
	v_dual_sub_f32 v5, v6, v16 :: v_dual_mul_f32 v16, 0xbf5db3d7, v17
	v_dual_mul_f32 v17, 0.5, v17 :: v_dual_fmac_f32 v14, 0x3f5db3d7, v20
	v_dual_add_f32 v6, v18, v8 :: v_dual_add_f32 v7, v19, v9
	v_dual_sub_f32 v8, v18, v8 :: v_dual_sub_f32 v9, v19, v9
	v_mul_f32_e32 v18, 0xbf5db3d7, v15
	v_dual_mul_f32 v19, -0.5, v15 :: v_dual_mul_f32 v26, 0xbf5db3d7, v12
	v_fmamk_f32 v22, v25, 0xbf5db3d7, v23
	v_fmac_f32_e32 v23, 0x3f5db3d7, v25
	v_fmamk_f32 v25, v27, 0x3f5db3d7, v105
	v_fmac_f32_e32 v105, 0xbf5db3d7, v27
	v_fmac_f32_e32 v99, 0x3f5db3d7, v30
	v_mul_f32_e32 v27, 0xbf5db3d7, v10
	v_dual_mul_f32 v29, -0.5, v10 :: v_dual_fmac_f32 v16, 0.5, v13
	v_dual_fmac_f32 v17, 0x3f5db3d7, v13 :: v_dual_fmac_f32 v18, -0.5, v14
	v_dual_fmac_f32 v19, 0x3f5db3d7, v14 :: v_dual_fmac_f32 v26, 0.5, v11
	s_delay_alu instid0(VALU_DEP_4) | instskip(NEXT) | instid1(VALU_DEP_4)
	v_fmac_f32_e32 v27, -0.5, v99
	v_dual_fmac_f32 v29, 0x3f5db3d7, v99 :: v_dual_add_f32 v10, v21, v16
	s_delay_alu instid0(VALU_DEP_4) | instskip(NEXT) | instid1(VALU_DEP_4)
	v_dual_add_f32 v11, v24, v17 :: v_dual_add_f32 v12, v74, v18
	v_dual_add_f32 v13, v75, v19 :: v_dual_sub_f32 v14, v21, v16
	v_dual_sub_f32 v16, v74, v18 :: v_dual_sub_f32 v15, v24, v17
	v_dual_sub_f32 v17, v75, v19 :: v_dual_add_f32 v18, v22, v26
	v_dual_add_f32 v19, v25, v28 :: v_dual_add_f32 v20, v23, v27
	v_dual_add_f32 v21, v105, v29 :: v_dual_sub_f32 v22, v22, v26
	v_dual_sub_f32 v24, v23, v27 :: v_dual_sub_f32 v23, v25, v28
	v_sub_f32_e32 v25, v105, v29
	ds_store_2addr_b64 v101, v[2:3], v[10:11] offset1:36
	ds_store_2addr_b64 v101, v[12:13], v[4:5] offset0:72 offset1:108
	ds_store_2addr_b64 v101, v[14:15], v[16:17] offset0:144 offset1:180
	ds_store_2addr_b64 v100, v[6:7], v[18:19] offset1:36
	ds_store_2addr_b64 v100, v[20:21], v[8:9] offset0:72 offset1:108
	ds_store_2addr_b64 v100, v[22:23], v[24:25] offset0:144 offset1:180
	s_waitcnt lgkmcnt(0)
	s_barrier
	buffer_gl0_inv
	ds_load_2addr_b64 v[2:5], v90 offset0:88 offset1:196
	ds_load_2addr_b64 v[6:9], v92 offset0:48 offset1:156
	;; [unrolled: 1-line block ×5, first 2 shown]
	v_mad_u64_u32 v[26:27], null, s4, v88, 0
	s_waitcnt lgkmcnt(4)
	v_mad_u64_u32 v[22:23], null, s7, v72, v[1:2]
	s_delay_alu instid0(VALU_DEP_2)
	v_mov_b32_e32 v1, v27
	s_waitcnt lgkmcnt(3)
	v_dual_mul_f32 v29, v37, v2 :: v_dual_mul_f32 v30, v39, v7
	v_mul_f32_e32 v31, v39, v6
	s_waitcnt lgkmcnt(2)
	v_mul_f32_e32 v39, v45, v10
	v_mad_u64_u32 v[27:28], null, s5, v88, v[1:2]
	v_mov_b32_e32 v1, v22
	ds_load_2addr_b64 v[22:25], v87 offset1:108
	v_mul_f32_e32 v28, v37, v3
	v_mul_f32_e32 v37, v45, v11
	s_waitcnt lgkmcnt(2)
	v_mul_f32_e32 v45, v47, v15
	s_waitcnt lgkmcnt(1)
	v_dual_mul_f32 v47, v47, v14 :: v_dual_mul_f32 v72, v84, v19
	v_mul_f32_e32 v76, v41, v13
	v_fmac_f32_e32 v30, v38, v6
	v_dual_fmac_f32 v45, v46, v14 :: v_dual_mul_f32 v74, v33, v5
	v_mul_f32_e32 v33, v33, v4
	v_mul_f32_e32 v75, v35, v9
	;; [unrolled: 1-line block ×4, first 2 shown]
	v_dual_mul_f32 v43, v43, v16 :: v_dual_fmac_f32 v28, v36, v2
	v_fma_f32 v2, v38, v7, -v31
	v_fmac_f32_e32 v37, v44, v10
	v_fma_f32 v6, v46, v15, -v47
	v_fmac_f32_e32 v72, v83, v18
	v_fmac_f32_e32 v76, v40, v12
	v_dual_add_f32 v12, v30, v45 :: v_dual_mul_f32 v35, v35, v8
	v_fma_f32 v29, v36, v3, -v29
	v_fma_f32 v3, v44, v11, -v39
	;; [unrolled: 1-line block ×3, first 2 shown]
	v_fmac_f32_e32 v75, v34, v8
	v_fma_f32 v5, v40, v13, -v41
	v_fma_f32 v8, v42, v17, -v43
	s_waitcnt lgkmcnt(0)
	v_add_f32_e32 v11, v22, v30
	v_sub_f32_e32 v13, v2, v6
	v_add_f32_e32 v17, v37, v72
	v_fma_f32 v22, -0.5, v12, v22
	v_dual_fmac_f32 v77, v42, v16 :: v_dual_add_f32 v16, v28, v37
	s_delay_alu instid0(VALU_DEP_3) | instskip(NEXT) | instid1(VALU_DEP_3)
	v_dual_mul_f32 v79, v82, v20 :: v_dual_fmac_f32 v28, -0.5, v17
	v_fmamk_f32 v17, v13, 0xbf5db3d7, v22
	v_dual_fmac_f32 v22, 0x3f5db3d7, v13 :: v_dual_mul_f32 v73, v84, v18
	v_mul_f32_e32 v78, v82, v21
	v_fmac_f32_e32 v74, v32, v4
	v_fma_f32 v4, v34, v9, -v35
	v_fma_f32 v9, v81, v21, -v79
	;; [unrolled: 1-line block ×3, first 2 shown]
	v_add_f32_e32 v14, v23, v2
	v_dual_add_f32 v2, v2, v6 :: v_dual_add_f32 v19, v29, v3
	v_fmac_f32_e32 v78, v81, v20
	s_delay_alu instid0(VALU_DEP_4)
	v_sub_f32_e32 v18, v3, v7
	v_add_f32_e32 v3, v3, v7
	v_dual_sub_f32 v15, v30, v45 :: v_dual_sub_f32 v20, v37, v72
	v_dual_add_f32 v21, v24, v75 :: v_dual_add_f32 v32, v25, v4
	v_add_f32_e32 v34, v74, v76
	v_sub_f32_e32 v36, v5, v9
	v_add_f32_e32 v37, v10, v5
	v_add_f32_e32 v5, v5, v9
	v_fma_f32 v23, -0.5, v2, v23
	v_dual_fmac_f32 v29, -0.5, v3 :: v_dual_add_f32 v30, v75, v77
	v_sub_f32_e32 v31, v4, v8
	v_add_f32_e32 v4, v4, v8
	v_add_f32_e32 v35, v76, v78
	v_dual_sub_f32 v38, v76, v78 :: v_dual_add_f32 v11, v11, v45
	v_add_f32_e32 v6, v14, v6
	v_dual_add_f32 v12, v16, v72 :: v_dual_add_f32 v7, v19, v7
	v_add_f32_e32 v14, v21, v77
	v_add_f32_e32 v16, v32, v8
	;; [unrolled: 1-line block ×3, first 2 shown]
	v_dual_fmac_f32 v10, -0.5, v5 :: v_dual_fmamk_f32 v19, v15, 0x3f5db3d7, v23
	v_fmac_f32_e32 v23, 0xbf5db3d7, v15
	v_fmamk_f32 v15, v20, 0x3f5db3d7, v29
	v_add_f32_e32 v9, v37, v9
	v_fmac_f32_e32 v29, 0xbf5db3d7, v20
	v_sub_f32_e32 v33, v75, v77
	v_fma_f32 v24, -0.5, v30, v24
	v_dual_fmac_f32 v25, -0.5, v4 :: v_dual_fmac_f32 v74, -0.5, v35
	v_dual_fmamk_f32 v13, v18, 0xbf5db3d7, v28 :: v_dual_add_f32 v2, v11, v12
	v_dual_add_f32 v3, v6, v7 :: v_dual_sub_f32 v4, v11, v12
	v_sub_f32_e32 v5, v6, v7
	v_fmamk_f32 v12, v38, 0x3f5db3d7, v10
	v_fmac_f32_e32 v10, 0xbf5db3d7, v38
	v_add_f32_e32 v6, v14, v8
	v_sub_f32_e32 v8, v14, v8
	v_mul_f32_e32 v14, 0xbf5db3d7, v15
	v_dual_mul_f32 v15, 0.5, v15 :: v_dual_fmac_f32 v28, 0x3f5db3d7, v18
	v_add_f32_e32 v7, v16, v9
	v_sub_f32_e32 v9, v16, v9
	v_mul_f32_e32 v16, 0xbf5db3d7, v29
	v_mul_f32_e32 v18, -0.5, v29
	v_fmamk_f32 v30, v31, 0xbf5db3d7, v24
	v_dual_fmac_f32 v24, 0x3f5db3d7, v31 :: v_dual_fmamk_f32 v31, v33, 0x3f5db3d7, v25
	v_fmac_f32_e32 v25, 0xbf5db3d7, v33
	v_fmamk_f32 v11, v36, 0xbf5db3d7, v74
	v_fmac_f32_e32 v74, 0x3f5db3d7, v36
	v_dual_mul_f32 v29, 0xbf5db3d7, v12 :: v_dual_mul_f32 v32, 0xbf5db3d7, v10
	v_dual_mul_f32 v33, 0.5, v12 :: v_dual_mul_f32 v34, -0.5, v10
	v_fmac_f32_e32 v14, 0.5, v13
	v_dual_fmac_f32 v15, 0x3f5db3d7, v13 :: v_dual_fmac_f32 v16, -0.5, v28
	s_delay_alu instid0(VALU_DEP_4) | instskip(NEXT) | instid1(VALU_DEP_4)
	v_dual_fmac_f32 v18, 0x3f5db3d7, v28 :: v_dual_fmac_f32 v29, 0.5, v11
	v_dual_fmac_f32 v32, -0.5, v74 :: v_dual_fmac_f32 v33, 0x3f5db3d7, v11
	v_fmac_f32_e32 v34, 0x3f5db3d7, v74
	s_delay_alu instid0(VALU_DEP_4) | instskip(NEXT) | instid1(VALU_DEP_4)
	v_dual_add_f32 v10, v17, v14 :: v_dual_add_f32 v11, v19, v15
	v_dual_add_f32 v12, v22, v16 :: v_dual_add_f32 v13, v23, v18
	v_dual_sub_f32 v14, v17, v14 :: v_dual_sub_f32 v15, v19, v15
	v_dual_sub_f32 v16, v22, v16 :: v_dual_sub_f32 v17, v23, v18
	v_add_f32_e32 v18, v30, v29
	v_dual_add_f32 v20, v24, v32 :: v_dual_add_f32 v19, v31, v33
	v_dual_add_f32 v21, v25, v34 :: v_dual_sub_f32 v22, v30, v29
	v_dual_sub_f32 v24, v24, v32 :: v_dual_sub_f32 v23, v31, v33
	v_sub_f32_e32 v25, v25, v34
	ds_store_b64 v87, v[10:11] offset:1728
	ds_store_b64 v87, v[12:13] offset:3456
	;; [unrolled: 1-line block ×5, first 2 shown]
	ds_store_2addr_b64 v87, v[2:3], v[6:7] offset1:108
	ds_store_b64 v87, v[18:19] offset:2592
	ds_store_b64 v87, v[20:21] offset:4320
	;; [unrolled: 1-line block ×5, first 2 shown]
	s_waitcnt lgkmcnt(0)
	s_barrier
	buffer_gl0_inv
	ds_load_2addr_b64 v[2:5], v87 offset1:108
	ds_load_2addr_b64 v[6:9], v90 offset0:88 offset1:196
	ds_load_2addr_b64 v[10:13], v92 offset0:48 offset1:156
	;; [unrolled: 1-line block ×5, first 2 shown]
	v_lshlrev_b64 v[0:1], 3, v[0:1]
	v_lshlrev_b64 v[26:27], 3, v[26:27]
	s_delay_alu instid0(VALU_DEP_2) | instskip(NEXT) | instid1(VALU_DEP_3)
	v_add_co_u32 v0, vcc_lo, s0, v0
	v_add_co_ci_u32_e32 v1, vcc_lo, s1, v1, vcc_lo
	s_add_i32 s0, s6, s3
	s_delay_alu instid0(VALU_DEP_2) | instskip(NEXT) | instid1(VALU_DEP_2)
	v_add_co_u32 v0, vcc_lo, v0, v26
	v_add_co_ci_u32_e32 v1, vcc_lo, v1, v27, vcc_lo
	s_waitcnt lgkmcnt(5)
	v_mul_f32_e32 v26, v53, v3
	s_waitcnt lgkmcnt(4)
	v_dual_mul_f32 v27, v53, v2 :: v_dual_mul_f32 v28, v55, v7
	v_mul_f32_e32 v29, v55, v6
	s_waitcnt lgkmcnt(3)
	v_mul_f32_e32 v30, v51, v11
	s_waitcnt lgkmcnt(2)
	v_dual_mul_f32 v31, v51, v10 :: v_dual_mul_f32 v32, v57, v15
	v_fmac_f32_e32 v28, v54, v6
	s_waitcnt lgkmcnt(1)
	v_dual_mul_f32 v33, v57, v14 :: v_dual_mul_f32 v34, v59, v19
	s_waitcnt lgkmcnt(0)
	v_dual_mul_f32 v35, v59, v18 :: v_dual_mul_f32 v36, v65, v23
	v_dual_mul_f32 v37, v65, v22 :: v_dual_mul_f32 v38, v63, v5
	v_dual_mul_f32 v39, v63, v4 :: v_dual_fmac_f32 v26, v52, v2
	v_fma_f32 v27, v52, v3, -v27
	v_mul_f32_e32 v40, v49, v9
	v_mul_f32_e32 v41, v49, v8
	v_fma_f32 v29, v54, v7, -v29
	v_mul_f32_e32 v42, v67, v13
	v_dual_mul_f32 v43, v67, v12 :: v_dual_fmac_f32 v30, v50, v10
	v_fma_f32 v31, v50, v11, -v31
	v_mul_f32_e32 v44, v61, v17
	v_dual_mul_f32 v45, v61, v16 :: v_dual_fmac_f32 v32, v56, v14
	;; [unrolled: 3-line block ×4, first 2 shown]
	v_fma_f32 v37, v64, v23, -v37
	v_fmac_f32_e32 v38, v62, v4
	v_fma_f32 v39, v62, v5, -v39
	v_cvt_f64_f32_e32 v[2:3], v26
	v_cvt_f64_f32_e32 v[4:5], v27
	v_fmac_f32_e32 v40, v48, v8
	v_fma_f32 v41, v48, v9, -v41
	v_cvt_f64_f32_e32 v[6:7], v28
	v_cvt_f64_f32_e32 v[8:9], v29
	;; [unrolled: 4-line block ×6, first 2 shown]
	v_cvt_f64_f32_e32 v[26:27], v38
	v_cvt_f64_f32_e32 v[28:29], v39
	;; [unrolled: 1-line block ×12, first 2 shown]
	s_mov_b32 s6, 0xfcd6e9e0
	s_mov_b32 s7, 0x3f4948b0
	v_add_co_u32 v50, vcc_lo, v0, s2
	v_mul_f64 v[2:3], v[2:3], s[6:7]
	v_mul_f64 v[4:5], v[4:5], s[6:7]
	v_add_co_ci_u32_e32 v51, vcc_lo, s0, v1, vcc_lo
	v_mul_f64 v[6:7], v[6:7], s[6:7]
	v_mul_f64 v[8:9], v[8:9], s[6:7]
	v_add_co_u32 v52, vcc_lo, v50, s2
	v_mul_f64 v[10:11], v[10:11], s[6:7]
	v_mul_f64 v[12:13], v[12:13], s[6:7]
	v_add_co_ci_u32_e32 v53, vcc_lo, s0, v51, vcc_lo
	v_mul_f64 v[14:15], v[14:15], s[6:7]
	v_mul_f64 v[16:17], v[16:17], s[6:7]
	;; [unrolled: 6-line block ×3, first 2 shown]
	v_mul_f64 v[26:27], v[26:27], s[6:7]
	v_mul_f64 v[28:29], v[28:29], s[6:7]
	;; [unrolled: 1-line block ×12, first 2 shown]
	v_add_co_u32 v56, vcc_lo, v54, s2
	v_add_co_ci_u32_e32 v57, vcc_lo, s0, v55, vcc_lo
	v_cvt_f32_f64_e32 v2, v[2:3]
	s_delay_alu instid0(VALU_DEP_3) | instskip(NEXT) | instid1(VALU_DEP_3)
	v_add_co_u32 v58, vcc_lo, v56, s2
	v_add_co_ci_u32_e32 v59, vcc_lo, s0, v57, vcc_lo
	v_cvt_f32_f64_e32 v3, v[4:5]
	v_cvt_f32_f64_e32 v4, v[6:7]
	;; [unrolled: 1-line block ×5, first 2 shown]
	v_mad_u64_u32 v[60:61], null, 0xffffe1a0, s4, v[58:59]
	v_cvt_f32_f64_e32 v8, v[14:15]
	v_cvt_f32_f64_e32 v9, v[16:17]
	s_mul_i32 s1, s5, 0xffffe1a0
	v_cvt_f32_f64_e32 v10, v[18:19]
	v_cvt_f32_f64_e32 v11, v[20:21]
	s_sub_i32 s1, s1, s4
	v_cvt_f32_f64_e32 v12, v[22:23]
	v_cvt_f32_f64_e32 v13, v[24:25]
	;; [unrolled: 1-line block ×14, first 2 shown]
	v_add_nc_u32_e32 v61, s1, v61
	v_add_co_u32 v26, vcc_lo, v60, s2
	s_delay_alu instid0(VALU_DEP_2) | instskip(NEXT) | instid1(VALU_DEP_2)
	v_add_co_ci_u32_e32 v27, vcc_lo, s0, v61, vcc_lo
	v_add_co_u32 v28, vcc_lo, v26, s2
	s_delay_alu instid0(VALU_DEP_2) | instskip(NEXT) | instid1(VALU_DEP_2)
	v_add_co_ci_u32_e32 v29, vcc_lo, s0, v27, vcc_lo
	;; [unrolled: 3-line block ×4, first 2 shown]
	v_add_co_u32 v34, vcc_lo, v32, s2
	s_delay_alu instid0(VALU_DEP_2)
	v_add_co_ci_u32_e32 v35, vcc_lo, s0, v33, vcc_lo
	s_clause 0x4
	global_store_b64 v[0:1], v[2:3], off
	global_store_b64 v[50:51], v[4:5], off
	;; [unrolled: 1-line block ×12, first 2 shown]
.LBB0_2:
	s_nop 0
	s_sendmsg sendmsg(MSG_DEALLOC_VGPRS)
	s_endpgm
	.section	.rodata,"a",@progbits
	.p2align	6, 0x0
	.amdhsa_kernel bluestein_single_back_len1296_dim1_sp_op_CI_CI
		.amdhsa_group_segment_fixed_size 10368
		.amdhsa_private_segment_fixed_size 0
		.amdhsa_kernarg_size 104
		.amdhsa_user_sgpr_count 15
		.amdhsa_user_sgpr_dispatch_ptr 0
		.amdhsa_user_sgpr_queue_ptr 0
		.amdhsa_user_sgpr_kernarg_segment_ptr 1
		.amdhsa_user_sgpr_dispatch_id 0
		.amdhsa_user_sgpr_private_segment_size 0
		.amdhsa_wavefront_size32 1
		.amdhsa_uses_dynamic_stack 0
		.amdhsa_enable_private_segment 0
		.amdhsa_system_sgpr_workgroup_id_x 1
		.amdhsa_system_sgpr_workgroup_id_y 0
		.amdhsa_system_sgpr_workgroup_id_z 0
		.amdhsa_system_sgpr_workgroup_info 0
		.amdhsa_system_vgpr_workitem_id 0
		.amdhsa_next_free_vgpr 140
		.amdhsa_next_free_sgpr 20
		.amdhsa_reserve_vcc 1
		.amdhsa_float_round_mode_32 0
		.amdhsa_float_round_mode_16_64 0
		.amdhsa_float_denorm_mode_32 3
		.amdhsa_float_denorm_mode_16_64 3
		.amdhsa_dx10_clamp 1
		.amdhsa_ieee_mode 1
		.amdhsa_fp16_overflow 0
		.amdhsa_workgroup_processor_mode 1
		.amdhsa_memory_ordered 1
		.amdhsa_forward_progress 0
		.amdhsa_shared_vgpr_count 0
		.amdhsa_exception_fp_ieee_invalid_op 0
		.amdhsa_exception_fp_denorm_src 0
		.amdhsa_exception_fp_ieee_div_zero 0
		.amdhsa_exception_fp_ieee_overflow 0
		.amdhsa_exception_fp_ieee_underflow 0
		.amdhsa_exception_fp_ieee_inexact 0
		.amdhsa_exception_int_div_zero 0
	.end_amdhsa_kernel
	.text
.Lfunc_end0:
	.size	bluestein_single_back_len1296_dim1_sp_op_CI_CI, .Lfunc_end0-bluestein_single_back_len1296_dim1_sp_op_CI_CI
                                        ; -- End function
	.section	.AMDGPU.csdata,"",@progbits
; Kernel info:
; codeLenInByte = 9868
; NumSgprs: 22
; NumVgprs: 140
; ScratchSize: 0
; MemoryBound: 0
; FloatMode: 240
; IeeeMode: 1
; LDSByteSize: 10368 bytes/workgroup (compile time only)
; SGPRBlocks: 2
; VGPRBlocks: 17
; NumSGPRsForWavesPerEU: 22
; NumVGPRsForWavesPerEU: 140
; Occupancy: 10
; WaveLimiterHint : 1
; COMPUTE_PGM_RSRC2:SCRATCH_EN: 0
; COMPUTE_PGM_RSRC2:USER_SGPR: 15
; COMPUTE_PGM_RSRC2:TRAP_HANDLER: 0
; COMPUTE_PGM_RSRC2:TGID_X_EN: 1
; COMPUTE_PGM_RSRC2:TGID_Y_EN: 0
; COMPUTE_PGM_RSRC2:TGID_Z_EN: 0
; COMPUTE_PGM_RSRC2:TIDIG_COMP_CNT: 0
	.text
	.p2alignl 7, 3214868480
	.fill 96, 4, 3214868480
	.type	__hip_cuid_48a24842630f7d5f,@object ; @__hip_cuid_48a24842630f7d5f
	.section	.bss,"aw",@nobits
	.globl	__hip_cuid_48a24842630f7d5f
__hip_cuid_48a24842630f7d5f:
	.byte	0                               ; 0x0
	.size	__hip_cuid_48a24842630f7d5f, 1

	.ident	"AMD clang version 19.0.0git (https://github.com/RadeonOpenCompute/llvm-project roc-6.4.0 25133 c7fe45cf4b819c5991fe208aaa96edf142730f1d)"
	.section	".note.GNU-stack","",@progbits
	.addrsig
	.addrsig_sym __hip_cuid_48a24842630f7d5f
	.amdgpu_metadata
---
amdhsa.kernels:
  - .args:
      - .actual_access:  read_only
        .address_space:  global
        .offset:         0
        .size:           8
        .value_kind:     global_buffer
      - .actual_access:  read_only
        .address_space:  global
        .offset:         8
        .size:           8
        .value_kind:     global_buffer
      - .actual_access:  read_only
        .address_space:  global
        .offset:         16
        .size:           8
        .value_kind:     global_buffer
      - .actual_access:  read_only
        .address_space:  global
        .offset:         24
        .size:           8
        .value_kind:     global_buffer
      - .actual_access:  read_only
        .address_space:  global
        .offset:         32
        .size:           8
        .value_kind:     global_buffer
      - .offset:         40
        .size:           8
        .value_kind:     by_value
      - .address_space:  global
        .offset:         48
        .size:           8
        .value_kind:     global_buffer
      - .address_space:  global
        .offset:         56
        .size:           8
        .value_kind:     global_buffer
      - .address_space:  global
        .offset:         64
        .size:           8
        .value_kind:     global_buffer
      - .address_space:  global
        .offset:         72
        .size:           8
        .value_kind:     global_buffer
      - .offset:         80
        .size:           4
        .value_kind:     by_value
      - .address_space:  global
        .offset:         88
        .size:           8
        .value_kind:     global_buffer
      - .address_space:  global
        .offset:         96
        .size:           8
        .value_kind:     global_buffer
    .group_segment_fixed_size: 10368
    .kernarg_segment_align: 8
    .kernarg_segment_size: 104
    .language:       OpenCL C
    .language_version:
      - 2
      - 0
    .max_flat_workgroup_size: 108
    .name:           bluestein_single_back_len1296_dim1_sp_op_CI_CI
    .private_segment_fixed_size: 0
    .sgpr_count:     22
    .sgpr_spill_count: 0
    .symbol:         bluestein_single_back_len1296_dim1_sp_op_CI_CI.kd
    .uniform_work_group_size: 1
    .uses_dynamic_stack: false
    .vgpr_count:     140
    .vgpr_spill_count: 0
    .wavefront_size: 32
    .workgroup_processor_mode: 1
amdhsa.target:   amdgcn-amd-amdhsa--gfx1100
amdhsa.version:
  - 1
  - 2
...

	.end_amdgpu_metadata
